;; amdgpu-corpus repo=ROCm/rocFFT kind=compiled arch=gfx1030 opt=O3
	.text
	.amdgcn_target "amdgcn-amd-amdhsa--gfx1030"
	.amdhsa_code_object_version 6
	.protected	fft_rtc_back_len169_factors_13_13_wgs_156_tpt_13_dp_op_CI_CI_sbrc_erc_z_xy_unaligned ; -- Begin function fft_rtc_back_len169_factors_13_13_wgs_156_tpt_13_dp_op_CI_CI_sbrc_erc_z_xy_unaligned
	.globl	fft_rtc_back_len169_factors_13_13_wgs_156_tpt_13_dp_op_CI_CI_sbrc_erc_z_xy_unaligned
	.p2align	8
	.type	fft_rtc_back_len169_factors_13_13_wgs_156_tpt_13_dp_op_CI_CI_sbrc_erc_z_xy_unaligned,@function
fft_rtc_back_len169_factors_13_13_wgs_156_tpt_13_dp_op_CI_CI_sbrc_erc_z_xy_unaligned: ; @fft_rtc_back_len169_factors_13_13_wgs_156_tpt_13_dp_op_CI_CI_sbrc_erc_z_xy_unaligned
; %bb.0:
	s_load_dwordx8 s[8:15], s[4:5], 0x0
	s_waitcnt lgkmcnt(0)
	s_load_dwordx4 s[0:3], s[12:13], 0x8
	s_waitcnt lgkmcnt(0)
	s_add_i32 s1, s0, -1
	s_mul_hi_u32 s1, s1, 0xaaaaaaab
	s_lshr_b32 s1, s1, 3
	s_add_i32 s3, s1, 1
	s_mul_i32 s2, s3, s2
	v_cvt_f32_u32_e32 v2, s3
	v_cvt_f32_u32_e32 v1, s2
	s_sub_i32 s12, 0, s2
	v_rcp_iflag_f32_e32 v2, v2
	v_rcp_iflag_f32_e32 v1, v1
	v_mul_f32_e32 v1, 0x4f7ffffe, v1
	v_cvt_u32_f32_e32 v1, v1
	v_readfirstlane_b32 s7, v1
	v_mul_f32_e32 v1, 0x4f7ffffe, v2
	s_mul_i32 s12, s12, s7
	v_cvt_u32_f32_e32 v1, v1
	s_mul_hi_u32 s12, s7, s12
	s_add_i32 s7, s7, s12
	v_readfirstlane_b32 s17, v1
	s_mul_hi_u32 s7, s6, s7
	s_mul_i32 s12, s7, s2
	s_add_i32 s13, s7, 1
	s_sub_i32 s12, s6, s12
	s_sub_i32 s16, s12, s2
	s_cmp_ge_u32 s12, s2
	s_cselect_b32 s7, s13, s7
	s_cselect_b32 s12, s16, s12
	s_add_i32 s13, s7, 1
	s_cmp_ge_u32 s12, s2
	s_cselect_b32 s33, s13, s7
	s_not_b32 s1, s1
	s_mul_i32 s2, s33, s2
	s_mul_i32 s1, s1, s17
	s_sub_i32 s2, s6, s2
	s_mul_hi_u32 s1, s17, s1
	s_load_dword s13, s[14:15], 0x10
	s_add_i32 s1, s17, s1
	s_load_dwordx4 s[16:19], s[14:15], 0x0
	s_mul_hi_u32 s7, s2, s1
	s_mul_hi_u32 s1, s6, s1
	s_mul_i32 s12, s7, s3
	s_mul_i32 s1, s1, s3
	s_sub_i32 s2, s2, s12
	s_add_i32 s12, s7, 1
	s_waitcnt lgkmcnt(0)
	s_sub_i32 s19, s2, s3
	s_cmp_ge_u32 s2, s3
	s_cselect_b32 s7, s12, s7
	s_cselect_b32 s2, s19, s2
	s_add_i32 s12, s7, 1
	s_cmp_ge_u32 s2, s3
	s_cselect_b32 s52, s12, s7
	s_sub_i32 s1, s6, s1
	s_sub_i32 s2, s1, s3
	s_cmp_ge_u32 s1, s3
	s_mul_i32 s6, s52, s13
	s_cselect_b32 s1, s2, s1
	s_sub_i32 s2, s1, s3
	s_cmp_ge_u32 s1, s3
	s_cselect_b32 s1, s2, s1
	s_lshl_b64 s[2:3], s[10:11], 3
	s_mul_i32 s1, s1, 12
	s_mul_i32 s7, s1, s18
	s_add_i32 s12, s7, s6
	s_add_u32 s6, s14, s2
	s_addc_u32 s7, s15, s3
	s_load_dwordx2 s[6:7], s[6:7], 0x0
	s_clause 0x1
	s_load_dwordx2 s[22:23], s[4:5], 0x20
	s_load_dwordx2 s[10:11], s[4:5], 0x58
	s_waitcnt lgkmcnt(0)
	s_mul_i32 s7, s7, s33
	s_mul_hi_u32 s13, s6, s33
	s_mul_i32 s6, s6, s33
	s_add_i32 s13, s13, s7
	s_add_u32 s20, s6, s12
	s_addc_u32 s21, s13, 0
	s_add_u32 s6, s22, s2
	s_addc_u32 s7, s23, s3
	s_clause 0x2
	s_load_dwordx4 s[12:15], s[22:23], 0x0
	s_load_dwordx2 s[2:3], s[22:23], 0x10
	s_load_dwordx2 s[6:7], s[6:7], 0x0
	s_waitcnt lgkmcnt(0)
	s_add_i32 s3, s1, 12
	s_mov_b32 s15, -1
	s_cmp_le_u32 s3, s0
	s_cselect_b32 s3, -1, 0
	s_and_b32 vcc_lo, exec_lo, s3
	s_cbranch_vccz .LBB0_2
; %bb.1:
	v_mov_b32_e32 v20, 0x184
	v_add_nc_u16 v4, v0, 0x9c
	v_add_nc_u16 v5, v0, 0x138
	v_mov_b32_e32 v40, 0
	s_lshl_b64 s[22:23], s[20:21], 4
	v_mul_u32_u24_sdwa v1, v0, v20 dst_sel:DWORD dst_unused:UNUSED_PAD src0_sel:WORD_0 src1_sel:DWORD
	v_mul_u32_u24_sdwa v3, v4, v20 dst_sel:DWORD dst_unused:UNUSED_PAD src0_sel:WORD_0 src1_sel:DWORD
	;; [unrolled: 1-line block ×3, first 2 shown]
	s_add_u32 s15, s10, s22
	s_addc_u32 s19, s11, s23
	v_lshrrev_b32_e32 v2, 16, v1
	v_lshrrev_b32_e32 v3, 16, v3
	v_lshrrev_b32_e32 v1, 16, v6
	v_add_nc_u16 v22, v0, 0x30c
	v_mov_b32_e32 v23, 0xc1f
	v_mul_lo_u16 v6, 0xa9, v2
	v_mul_lo_u16 v7, 0xa9, v3
	;; [unrolled: 1-line block ×3, first 2 shown]
	v_mul_lo_u32 v39, s18, v2
	v_add_nc_u16 v24, v0, 0x3a8
	v_sub_nc_u16 v6, v0, v6
	v_sub_nc_u16 v7, v4, v7
	;; [unrolled: 1-line block ×3, first 2 shown]
	v_add_nc_u16 v25, v0, 0x444
	v_add_nc_u16 v26, v0, 0x4e0
	v_and_b32_e32 v4, 0xffff, v6
	v_and_b32_e32 v5, 0xffff, v7
	;; [unrolled: 1-line block ×3, first 2 shown]
	v_lshlrev_b64 v[13:14], 4, v[39:40]
	v_mul_lo_u32 v39, s18, v3
	v_mad_u64_u32 v[7:8], null, s16, v4, 0
	v_mad_u64_u32 v[9:10], null, s16, v5, 0
	;; [unrolled: 1-line block ×3, first 2 shown]
	v_add_nc_u16 v27, v0, 0x57c
	v_add_nc_u16 v28, v0, 0x618
	;; [unrolled: 1-line block ×4, first 2 shown]
	v_mad_u64_u32 v[15:16], null, s17, v4, v[8:9]
	v_mad_u64_u32 v[16:17], null, s17, v5, v[10:11]
	v_mad_u64_u32 v[17:18], null, s17, v6, v[12:13]
	v_lshlrev_b64 v[18:19], 4, v[39:40]
	v_mul_lo_u32 v39, s18, v1
	v_mov_b32_e32 v8, v15
	v_mul_u32_u24_sdwa v32, v22, v23 dst_sel:DWORD dst_unused:UNUSED_PAD src0_sel:WORD_0 src1_sel:DWORD
	v_mov_b32_e32 v10, v16
	v_mul_u32_u24_sdwa v33, v24, v23 dst_sel:DWORD dst_unused:UNUSED_PAD src0_sel:WORD_0 src1_sel:DWORD
	v_mov_b32_e32 v12, v17
	v_lshlrev_b64 v[7:8], 4, v[7:8]
	v_mul_u32_u24_sdwa v34, v25, v23 dst_sel:DWORD dst_unused:UNUSED_PAD src0_sel:WORD_0 src1_sel:DWORD
	v_lshlrev_b64 v[9:10], 4, v[9:10]
	v_lshlrev_b64 v[15:16], 4, v[39:40]
	;; [unrolled: 1-line block ×3, first 2 shown]
	v_mul_u32_u24_sdwa v35, v26, v23 dst_sel:DWORD dst_unused:UNUSED_PAD src0_sel:WORD_0 src1_sel:DWORD
	v_add_co_u32 v7, vcc_lo, s15, v7
	v_add_co_ci_u32_e32 v8, vcc_lo, s19, v8, vcc_lo
	v_add_co_u32 v9, vcc_lo, s15, v9
	v_add_co_ci_u32_e32 v10, vcc_lo, s19, v10, vcc_lo
	v_add_co_u32 v17, vcc_lo, s15, v11
	v_add_co_ci_u32_e32 v21, vcc_lo, s19, v12, vcc_lo
	v_add_co_u32 v7, vcc_lo, v7, v13
	v_add_co_ci_u32_e32 v8, vcc_lo, v8, v14, vcc_lo
	v_add_co_u32 v11, vcc_lo, v9, v18
	v_add_co_ci_u32_e32 v12, vcc_lo, v10, v19, vcc_lo
	v_add_co_u32 v15, vcc_lo, v17, v15
	v_add_co_ci_u32_e32 v16, vcc_lo, v21, v16, vcc_lo
	v_add_nc_u16 v19, v0, 0x1d4
	v_add_nc_u16 v21, v0, 0x270
	v_mul_u32_u24_sdwa v36, v27, v23 dst_sel:DWORD dst_unused:UNUSED_PAD src0_sel:WORD_0 src1_sel:DWORD
	v_mul_u32_u24_sdwa v37, v28, v23 dst_sel:DWORD dst_unused:UNUSED_PAD src0_sel:WORD_0 src1_sel:DWORD
	;; [unrolled: 1-line block ×6, first 2 shown]
	v_lshrrev_b32_e32 v61, 19, v32
	v_lshrrev_b32_e32 v62, 19, v33
	;; [unrolled: 1-line block ×7, first 2 shown]
	v_mul_lo_u16 v20, 0xa9, v59
	v_mul_lo_u16 v23, 0xa9, v60
	v_mul_lo_u16 v31, 0xa9, v61
	v_lshrrev_b32_e32 v65, 19, v36
	v_lshrrev_b32_e32 v66, 19, v37
	v_mul_lo_u16 v32, 0xa9, v62
	v_sub_nc_u16 v19, v19, v20
	v_sub_nc_u16 v20, v21, v23
	v_mul_lo_u16 v33, 0xa9, v63
	v_mul_lo_u16 v34, 0xa9, v64
	v_sub_nc_u16 v21, v22, v31
	v_mul_lo_u16 v35, 0xa9, v65
	v_mul_lo_u16 v36, 0xa9, v66
	v_sub_nc_u16 v22, v24, v32
	v_lshrrev_b32_e32 v67, 19, v38
	v_and_b32_e32 v69, 0xffff, v19
	v_and_b32_e32 v70, 0xffff, v20
	v_sub_nc_u16 v23, v25, v33
	v_sub_nc_u16 v24, v26, v34
	v_and_b32_e32 v71, 0xffff, v21
	v_sub_nc_u16 v25, v27, v35
	v_sub_nc_u16 v26, v28, v36
	v_and_b32_e32 v72, 0xffff, v22
	v_mul_lo_u16 v37, 0xa9, v67
	v_mul_lo_u16 v38, 0xa9, v68
	v_mad_u64_u32 v[19:20], null, s16, v69, 0
	v_mad_u64_u32 v[21:22], null, s16, v70, 0
	v_and_b32_e32 v73, 0xffff, v23
	v_and_b32_e32 v74, 0xffff, v24
	v_mad_u64_u32 v[23:24], null, s16, v71, 0
	v_and_b32_e32 v75, 0xffff, v25
	v_and_b32_e32 v76, 0xffff, v26
	v_mad_u64_u32 v[25:26], null, s16, v72, 0
	v_sub_nc_u16 v27, v29, v37
	v_sub_nc_u16 v28, v30, v38
	v_mad_u64_u32 v[35:36], null, s17, v69, v[20:21]
	v_mad_u64_u32 v[29:30], null, s16, v74, 0
	v_and_b32_e32 v77, 0xffff, v27
	v_and_b32_e32 v78, 0xffff, v28
	v_mad_u64_u32 v[27:28], null, s16, v73, 0
	v_mad_u64_u32 v[36:37], null, s17, v70, v[22:23]
	;; [unrolled: 1-line block ×6, first 2 shown]
	v_mov_b32_e32 v20, v35
	v_mov_b32_e32 v22, v36
	v_mad_u64_u32 v[35:36], null, s17, v73, v[28:29]
	v_mov_b32_e32 v24, v37
	v_mad_u64_u32 v[36:37], null, s16, v78, 0
	v_mad_u64_u32 v[38:39], null, s17, v72, v[26:27]
	v_mov_b32_e32 v26, v30
	v_mov_b32_e32 v30, v32
	v_mul_lo_u32 v39, s18, v59
	v_mov_b32_e32 v28, v42
	v_lshlrev_b64 v[19:20], 4, v[19:20]
	v_mad_u64_u32 v[43:44], null, s17, v74, v[26:27]
	v_mov_b32_e32 v26, v34
	v_mad_u64_u32 v[44:45], null, s17, v75, v[30:31]
	v_mov_b32_e32 v30, v37
	v_lshlrev_b64 v[21:22], 4, v[21:22]
	v_mad_u64_u32 v[45:46], null, s17, v76, v[26:27]
	v_mad_u64_u32 v[46:47], null, s17, v77, v[28:29]
	;; [unrolled: 1-line block ×3, first 2 shown]
	v_lshlrev_b64 v[48:49], 4, v[39:40]
	v_mul_lo_u32 v39, s18, v60
	v_mov_b32_e32 v30, v43
	v_mov_b32_e32 v32, v44
	v_lshlrev_b64 v[23:24], 4, v[23:24]
	v_add_co_u32 v19, vcc_lo, s15, v19
	v_mov_b32_e32 v37, v47
	v_mov_b32_e32 v26, v38
	v_lshlrev_b64 v[43:44], 4, v[39:40]
	v_mul_lo_u32 v39, s18, v61
	v_add_co_ci_u32_e32 v20, vcc_lo, s19, v20, vcc_lo
	v_mov_b32_e32 v28, v35
	v_add_co_u32 v35, vcc_lo, s15, v21
	v_mov_b32_e32 v34, v45
	v_mov_b32_e32 v42, v46
	v_lshlrev_b64 v[45:46], 4, v[36:37]
	v_add_co_ci_u32_e32 v36, vcc_lo, s19, v22, vcc_lo
	v_lshlrev_b64 v[25:26], 4, v[25:26]
	v_add_co_u32 v37, vcc_lo, s15, v23
	v_lshlrev_b64 v[21:22], 4, v[39:40]
	v_mul_lo_u32 v39, s18, v62
	v_add_co_ci_u32_e32 v38, vcc_lo, s19, v24, vcc_lo
	v_add_co_u32 v19, vcc_lo, v19, v48
	v_add_co_ci_u32_e32 v20, vcc_lo, v20, v49, vcc_lo
	v_lshlrev_b64 v[27:28], 4, v[27:28]
	v_add_co_u32 v47, vcc_lo, s15, v25
	v_add_co_ci_u32_e32 v48, vcc_lo, s19, v26, vcc_lo
	v_add_co_u32 v23, vcc_lo, v35, v43
	v_lshlrev_b64 v[25:26], 4, v[39:40]
	v_mul_lo_u32 v39, s18, v63
	v_add_co_ci_u32_e32 v24, vcc_lo, v36, v44, vcc_lo
	v_add_co_u32 v43, vcc_lo, s15, v27
	v_lshlrev_b64 v[29:30], 4, v[29:30]
	v_add_co_ci_u32_e32 v44, vcc_lo, s19, v28, vcc_lo
	v_add_co_u32 v27, vcc_lo, v37, v21
	v_add_co_ci_u32_e32 v28, vcc_lo, v38, v22, vcc_lo
	v_lshlrev_b64 v[21:22], 4, v[39:40]
	v_mul_lo_u32 v39, s18, v64
	v_add_co_u32 v29, vcc_lo, s15, v29
	v_lshlrev_b64 v[31:32], 4, v[31:32]
	v_add_co_ci_u32_e32 v30, vcc_lo, s19, v30, vcc_lo
	v_add_co_u32 v35, vcc_lo, v47, v25
	v_add_co_ci_u32_e32 v36, vcc_lo, v48, v26, vcc_lo
	v_lshlrev_b64 v[25:26], 4, v[39:40]
	v_mul_lo_u32 v39, s18, v65
	;; [unrolled: 7-line block ×3, first 2 shown]
	v_add_co_u32 v33, vcc_lo, s15, v33
	v_add_co_ci_u32_e32 v34, vcc_lo, s19, v34, vcc_lo
	v_add_co_u32 v43, vcc_lo, v29, v25
	v_lshlrev_b64 v[41:42], 4, v[41:42]
	v_add_co_ci_u32_e32 v44, vcc_lo, v30, v26, vcc_lo
	v_lshlrev_b64 v[25:26], 4, v[39:40]
	v_mul_lo_u32 v39, s18, v67
	s_clause 0x2
	global_load_dwordx4 v[7:10], v[7:8], off
	global_load_dwordx4 v[11:14], v[11:12], off
	;; [unrolled: 1-line block ×3, first 2 shown]
	v_add_co_u32 v51, vcc_lo, s15, v41
	v_add_co_ci_u32_e32 v52, vcc_lo, s19, v42, vcc_lo
	v_add_co_u32 v47, vcc_lo, v31, v21
	v_lshlrev_b64 v[41:42], 4, v[39:40]
	v_mul_lo_u32 v39, s18, v68
	v_add_co_ci_u32_e32 v48, vcc_lo, v32, v22, vcc_lo
	global_load_dwordx4 v[19:22], v[19:20], off
	v_add_co_u32 v49, vcc_lo, v33, v25
	v_add_co_ci_u32_e32 v50, vcc_lo, v34, v26, vcc_lo
	v_add_co_u32 v51, vcc_lo, v51, v41
	s_clause 0x3
	global_load_dwordx4 v[23:26], v[23:24], off
	global_load_dwordx4 v[27:30], v[27:28], off
	;; [unrolled: 1-line block ×4, first 2 shown]
	v_add_co_ci_u32_e32 v52, vcc_lo, v52, v42, vcc_lo
	v_lshlrev_b64 v[53:54], 4, v[39:40]
	v_add_co_u32 v45, vcc_lo, s15, v45
	v_add_co_ci_u32_e32 v46, vcc_lo, s19, v46, vcc_lo
	global_load_dwordx4 v[39:42], v[43:44], off
	v_add_co_u32 v55, vcc_lo, v45, v53
	v_add_co_ci_u32_e32 v56, vcc_lo, v46, v54, vcc_lo
	s_clause 0x3
	global_load_dwordx4 v[43:46], v[47:48], off
	global_load_dwordx4 v[47:50], v[49:50], off
	;; [unrolled: 1-line block ×4, first 2 shown]
	v_mul_u32_u24_e32 v2, 0xaa0, v2
	v_mul_u32_u24_e32 v3, 0xaa0, v3
	v_lshlrev_b32_e32 v4, 4, v4
	v_lshlrev_b32_e32 v5, 4, v5
	v_mul_u32_u24_e32 v1, 0xaa0, v1
	v_lshlrev_b32_e32 v6, 4, v6
	s_mov_b32 s15, 0
	v_add3_u32 v2, 0, v2, v4
	v_add3_u32 v3, 0, v3, v5
	v_mul_u32_u24_e32 v4, 0xaa0, v59
	v_lshlrev_b32_e32 v5, 4, v69
	v_add3_u32 v1, 0, v1, v6
	v_mul_u32_u24_e32 v6, 0xaa0, v62
	s_waitcnt vmcnt(12)
	ds_write_b128 v2, v[7:10]
	s_waitcnt vmcnt(11)
	ds_write_b128 v3, v[11:14]
	;; [unrolled: 2-line block ×3, first 2 shown]
	v_add3_u32 v1, 0, v4, v5
	v_mul_u32_u24_e32 v2, 0xaa0, v60
	v_lshlrev_b32_e32 v3, 4, v70
	v_mul_u32_u24_e32 v4, 0xaa0, v61
	v_lshlrev_b32_e32 v5, 4, v71
	v_lshlrev_b32_e32 v7, 4, v72
	v_mul_u32_u24_e32 v8, 0xaa0, v63
	v_lshlrev_b32_e32 v9, 4, v73
	s_waitcnt vmcnt(9)
	ds_write_b128 v1, v[19:22]
	v_add3_u32 v1, 0, v2, v3
	v_add3_u32 v2, 0, v4, v5
	;; [unrolled: 1-line block ×3, first 2 shown]
	v_mul_u32_u24_e32 v5, 0xaa0, v64
	v_lshlrev_b32_e32 v6, 4, v74
	v_add3_u32 v4, 0, v8, v9
	s_waitcnt vmcnt(8)
	ds_write_b128 v1, v[23:26]
	s_waitcnt vmcnt(7)
	ds_write_b128 v2, v[27:30]
	;; [unrolled: 2-line block ×4, first 2 shown]
	v_mul_u32_u24_e32 v2, 0xaa0, v65
	v_add3_u32 v1, 0, v5, v6
	v_lshlrev_b32_e32 v3, 4, v75
	v_mul_u32_u24_e32 v8, 0xaa0, v68
	v_lshlrev_b32_e32 v9, 4, v78
	v_mul_u32_u24_e32 v4, 0xaa0, v66
	;; [unrolled: 2-line block ×3, first 2 shown]
	v_lshlrev_b32_e32 v7, 4, v77
	v_add3_u32 v2, 0, v2, v3
	s_waitcnt vmcnt(4)
	ds_write_b128 v1, v[39:42]
	v_add3_u32 v1, 0, v8, v9
	v_add3_u32 v3, 0, v4, v5
	;; [unrolled: 1-line block ×3, first 2 shown]
	s_waitcnt vmcnt(3)
	ds_write_b128 v2, v[43:46]
	s_waitcnt vmcnt(2)
	ds_write_b128 v3, v[47:50]
	;; [unrolled: 2-line block ×4, first 2 shown]
.LBB0_2:
	s_load_dwordx2 s[4:5], s[4:5], 0x60
	s_andn2_b32 vcc_lo, exec_lo, s15
	s_cbranch_vccnz .LBB0_6
; %bb.3:
	s_lshl_b64 s[20:21], s[20:21], 4
	v_mov_b32_e32 v2, 0
	v_mov_b32_e32 v3, 0xc1e5
	;; [unrolled: 1-line block ×3, first 2 shown]
	s_add_u32 s10, s10, s20
	s_addc_u32 s15, s11, s21
	s_mov_b32 s11, 0
	s_inst_prefetch 0x1
	.p2align	6
.LBB0_4:                                ; =>This Inner Loop Header: Depth=1
	v_mul_u32_u24_sdwa v1, v4, v3 dst_sel:DWORD dst_unused:UNUSED_PAD src0_sel:WORD_0 src1_sel:DWORD
	v_lshrrev_b32_e32 v9, 23, v1
	v_mul_lo_u16 v1, 0xa9, v9
	v_sub_nc_u16 v1, v4, v1
	v_add_nc_u32_e32 v4, 0x9c, v4
	v_and_b32_e32 v10, 0xffff, v1
	v_mad_u64_u32 v[5:6], null, s16, v10, 0
	v_mov_b32_e32 v1, v6
	v_mad_u64_u32 v[6:7], null, s17, v10, v[1:2]
	v_mul_lo_u32 v1, v9, s18
	v_lshlrev_b64 v[5:6], 4, v[5:6]
	v_lshlrev_b64 v[7:8], 4, v[1:2]
	v_add_co_u32 v1, vcc_lo, s10, v5
	v_add_co_ci_u32_e32 v6, vcc_lo, s15, v6, vcc_lo
	v_add_co_u32 v5, vcc_lo, v1, v7
	v_add_co_ci_u32_e32 v6, vcc_lo, v6, v8, vcc_lo
	v_mul_u32_u24_e32 v1, 0xaa0, v9
	v_lshlrev_b32_e32 v9, 4, v10
	v_cmp_lt_u32_e32 vcc_lo, 0x7eb, v4
	global_load_dwordx4 v[5:8], v[5:6], off
	v_add3_u32 v1, 0, v1, v9
	s_or_b32 s11, vcc_lo, s11
	s_waitcnt vmcnt(0)
	ds_write_b128 v1, v[5:8]
	s_andn2_b32 exec_lo, exec_lo, s11
	s_cbranch_execnz .LBB0_4
; %bb.5:
	s_inst_prefetch 0x2
	s_or_b32 exec_lo, exec_lo, s11
.LBB0_6:
	v_mov_b32_e32 v1, 0x13b2
	v_mul_hi_u32 v3, 0x13b13b14, v0
	s_waitcnt lgkmcnt(0)
	s_barrier
	buffer_gl0_inv
	v_mul_u32_u24_sdwa v1, v0, v1 dst_sel:DWORD dst_unused:UNUSED_PAD src0_sel:WORD_0 src1_sel:DWORD
	s_mov_b32 s34, 0x4267c47c
	s_mov_b32 s40, 0x42a4c3d2
	;; [unrolled: 1-line block ×4, first 2 shown]
	v_add_nc_u32_sdwa v1, s1, v1 dst_sel:DWORD dst_unused:UNUSED_PAD src0_sel:DWORD src1_sel:WORD_1
	s_mov_b32 s20, 0x24c2f84
	s_mov_b32 s10, 0x4bc48dbf
	;; [unrolled: 1-line block ×4, first 2 shown]
	v_mul_hi_u32 v2, 0xaaaaaaab, v1
	s_mov_b32 s35, 0xbfddbe06
	s_mov_b32 s41, 0xbfea55e2
	;; [unrolled: 1-line block ×7, first 2 shown]
	v_lshrrev_b32_e32 v2, 3, v2
	s_mov_b32 s31, 0x3fe22d96
	s_mov_b32 s22, 0xebaa3ed8
	;; [unrolled: 1-line block ×4, first 2 shown]
	v_mul_lo_u32 v2, v2, 12
	s_mov_b32 s18, 0x93053d00
	s_mov_b32 s23, 0x3fbedb7d
	;; [unrolled: 1-line block ×7, first 2 shown]
	v_sub_nc_u32_e32 v1, v1, v2
	v_mul_u32_u24_e32 v2, 13, v3
	s_mov_b32 s45, 0x3fea55e2
	s_mov_b32 s43, 0x3fedeba7
	;; [unrolled: 1-line block ×3, first 2 shown]
	v_mul_u32_u24_e32 v1, 0xaa, v1
	v_sub_nc_u32_e32 v72, v0, v2
	s_mov_b32 s42, s24
	s_mov_b32 s37, 0x3fefc445
	;; [unrolled: 1-line block ×3, first 2 shown]
	v_lshlrev_b32_e32 v1, 4, v1
	v_lshlrev_b32_e32 v2, 4, v72
	s_mov_b32 s51, 0x3fe5384d
	s_mov_b32 s49, 0x3fcea1e5
	;; [unrolled: 1-line block ×3, first 2 shown]
	v_add_nc_u32_e32 v73, 0, v1
	v_add3_u32 v113, 0, v2, v1
	s_mov_b32 s48, s10
	s_mul_i32 s52, s52, s14
	s_mul_i32 s7, s7, s33
	v_add_nc_u32_e32 v71, v73, v2
	ds_read_b128 v[9:12], v113 offset:208
	ds_read_b128 v[1:4], v71
	ds_read_b128 v[17:20], v113 offset:416
	ds_read_b128 v[21:24], v113 offset:624
	;; [unrolled: 1-line block ×6, first 2 shown]
	s_waitcnt lgkmcnt(6)
	v_add_f64 v[5:6], v[1:2], v[9:10]
	v_add_f64 v[7:8], v[3:4], v[11:12]
	s_waitcnt lgkmcnt(1)
	v_add_f64 v[39:40], v[31:32], v[76:77]
	v_add_f64 v[41:42], v[31:32], -v[76:77]
	s_waitcnt lgkmcnt(0)
	v_add_f64 v[37:38], v[25:26], -v[78:79]
	v_add_f64 v[43:44], v[27:28], v[80:81]
	v_add_f64 v[47:48], v[27:28], -v[80:81]
	v_add_f64 v[5:6], v[5:6], v[17:18]
	v_add_f64 v[7:8], v[7:8], v[19:20]
	v_mul_f64 v[154:155], v[39:40], s[22:23]
	v_mul_f64 v[156:157], v[41:42], s[40:41]
	;; [unrolled: 1-line block ×7, first 2 shown]
	v_add_f64 v[5:6], v[5:6], v[21:22]
	v_add_f64 v[7:8], v[7:8], v[23:24]
	;; [unrolled: 1-line block ×4, first 2 shown]
	ds_read_b128 v[5:8], v113 offset:2496
	ds_read_b128 v[49:52], v113 offset:1248
	;; [unrolled: 1-line block ×5, first 2 shown]
	v_add_f64 v[27:28], v[29:30], v[74:75]
	s_waitcnt lgkmcnt(0)
	s_barrier
	buffer_gl0_inv
	v_add_f64 v[57:58], v[11:12], -v[7:8]
	v_add_f64 v[53:54], v[33:34], v[29:30]
	v_add_f64 v[55:56], v[35:36], v[31:32]
	;; [unrolled: 1-line block ×3, first 2 shown]
	v_add_f64 v[35:36], v[51:52], -v[84:85]
	v_add_f64 v[45:46], v[21:22], v[86:87]
	v_add_f64 v[69:70], v[19:20], -v[15:16]
	v_add_f64 v[67:68], v[19:20], v[15:16]
	;; [unrolled: 2-line block ×3, first 2 shown]
	v_add_f64 v[25:26], v[49:50], v[82:83]
	v_add_f64 v[59:60], v[11:12], v[7:8]
	v_add_f64 v[11:12], v[49:50], -v[82:83]
	v_add_f64 v[29:30], v[29:30], -v[74:75]
	v_add_f64 v[90:91], v[9:10], v[5:6]
	v_add_f64 v[92:93], v[9:10], -v[5:6]
	v_add_f64 v[63:64], v[23:24], v[88:89]
	;; [unrolled: 2-line block ×3, first 2 shown]
	v_mul_f64 v[94:95], v[57:58], s[34:35]
	v_add_f64 v[21:22], v[53:54], v[49:50]
	v_add_f64 v[51:52], v[55:56], v[51:52]
	v_mul_f64 v[96:97], v[57:58], s[40:41]
	v_mul_f64 v[98:99], v[57:58], s[16:17]
	;; [unrolled: 1-line block ×5, first 2 shown]
	v_add_f64 v[49:50], v[17:18], -v[13:14]
	v_mul_f64 v[61:62], v[67:68], s[30:31]
	v_mul_f64 v[120:121], v[69:70], s[24:25]
	;; [unrolled: 1-line block ×13, first 2 shown]
	v_fma_f64 v[160:161], v[90:91], s[38:39], v[94:95]
	v_add_f64 v[82:83], v[21:22], v[82:83]
	v_add_f64 v[84:85], v[51:52], v[84:85]
	v_fma_f64 v[94:95], v[90:91], s[38:39], -v[94:95]
	v_fma_f64 v[166:167], v[90:91], s[30:31], v[96:97]
	v_fma_f64 v[96:97], v[90:91], s[30:31], -v[96:97]
	v_fma_f64 v[168:169], v[90:91], s[22:23], v[98:99]
	;; [unrolled: 2-line block ×4, first 2 shown]
	v_fma_f64 v[170:171], v[92:93], s[46:47], v[106:107]
	v_fma_f64 v[102:103], v[90:91], s[28:29], -v[102:103]
	v_fma_f64 v[184:185], v[49:50], s[44:45], v[61:62]
	v_fma_f64 v[186:187], v[23:24], s[26:27], v[120:121]
	v_mul_f64 v[130:131], v[67:68], s[18:19]
	v_mul_f64 v[134:135], v[67:68], s[28:29]
	v_fma_f64 v[176:177], v[23:24], s[30:31], v[59:60]
	v_fma_f64 v[178:179], v[92:93], s[42:43], v[114:115]
	;; [unrolled: 1-line block ×3, first 2 shown]
	v_mul_f64 v[51:52], v[47:48], s[24:25]
	v_mul_f64 v[126:127], v[63:64], s[18:19]
	v_add_f64 v[160:161], v[1:2], v[160:161]
	v_add_f64 v[74:75], v[82:83], v[74:75]
	;; [unrolled: 1-line block ×3, first 2 shown]
	v_mul_f64 v[124:125], v[65:66], s[10:11]
	v_add_f64 v[166:167], v[1:2], v[166:167]
	v_mul_f64 v[132:133], v[69:70], s[50:51]
	v_add_f64 v[168:169], v[1:2], v[168:169]
	v_add_f64 v[98:99], v[1:2], v[98:99]
	v_mul_f64 v[138:139], v[65:66], s[42:43]
	v_mul_f64 v[140:141], v[63:64], s[26:27]
	v_add_f64 v[96:97], v[1:2], v[96:97]
	v_add_f64 v[170:171], v[3:4], v[170:171]
	v_mul_f64 v[17:18], v[41:42], s[20:21]
	v_mul_f64 v[144:145], v[63:64], s[38:39]
	;; [unrolled: 1-line block ×4, first 2 shown]
	v_add_f64 v[172:173], v[1:2], v[172:173]
	v_fma_f64 v[180:181], v[92:93], s[50:51], v[116:117]
	v_add_f64 v[178:179], v[3:4], v[178:179]
	v_add_f64 v[114:115], v[3:4], v[114:115]
	v_fma_f64 v[116:117], v[92:93], s[20:21], v[116:117]
	v_fma_f64 v[182:183], v[92:93], s[48:49], v[118:119]
	v_add_f64 v[160:161], v[176:177], v[160:161]
	v_add_f64 v[74:75], v[74:75], v[78:79]
	;; [unrolled: 1-line block ×3, first 2 shown]
	v_fma_f64 v[78:79], v[90:91], s[18:19], v[104:105]
	v_fma_f64 v[90:91], v[90:91], s[18:19], -v[104:105]
	v_fma_f64 v[104:105], v[92:93], s[34:35], v[106:107]
	v_fma_f64 v[106:107], v[92:93], s[40:41], v[108:109]
	;; [unrolled: 1-line block ×6, first 2 shown]
	v_add_f64 v[170:171], v[184:185], v[170:171]
	v_add_f64 v[166:167], v[186:187], v[166:167]
	v_fma_f64 v[186:187], v[49:50], s[20:21], v[134:135]
	v_fma_f64 v[134:135], v[49:50], s[50:51], v[134:135]
	;; [unrolled: 1-line block ×5, first 2 shown]
	v_mul_f64 v[118:119], v[43:44], s[22:23]
	v_fma_f64 v[132:133], v[23:24], s[28:29], -v[132:133]
	v_add_f64 v[100:101], v[1:2], v[100:101]
	v_mul_f64 v[53:54], v[43:44], s[26:27]
	v_mul_f64 v[9:10], v[35:36], s[10:11]
	v_add_f64 v[74:75], v[74:75], v[86:87]
	v_add_f64 v[76:77], v[76:77], v[88:89]
	v_fma_f64 v[86:87], v[49:50], s[42:43], v[122:123]
	v_fma_f64 v[88:89], v[23:24], s[26:27], -v[120:121]
	v_fma_f64 v[120:121], v[49:50], s[24:25], v[122:123]
	v_fma_f64 v[122:123], v[23:24], s[18:19], v[128:129]
	v_add_f64 v[106:107], v[3:4], v[106:107]
	v_fma_f64 v[128:129], v[23:24], s[18:19], -v[128:129]
	v_add_f64 v[80:81], v[3:4], v[80:81]
	v_add_f64 v[108:109], v[3:4], v[108:109]
	;; [unrolled: 1-line block ×3, first 2 shown]
	v_mul_f64 v[136:137], v[69:70], s[36:37]
	v_add_f64 v[178:179], v[186:187], v[178:179]
	v_fma_f64 v[186:187], v[45:46], s[26:27], v[138:139]
	v_add_f64 v[114:115], v[134:135], v[114:115]
	v_fma_f64 v[134:135], v[19:20], s[24:25], v[140:141]
	v_fma_f64 v[138:139], v[45:46], s[26:27], -v[138:139]
	v_mul_f64 v[82:83], v[41:42], s[36:37]
	v_mul_f64 v[164:165], v[67:68], s[22:23]
	v_add_f64 v[172:173], v[184:185], v[172:173]
	v_fma_f64 v[140:141], v[19:20], s[42:43], v[140:141]
	v_add_f64 v[100:101], v[132:133], v[100:101]
	v_mul_f64 v[69:70], v[69:70], s[46:47]
	v_mul_f64 v[67:68], v[67:68], s[38:39]
	;; [unrolled: 1-line block ×3, first 2 shown]
	v_add_f64 v[88:89], v[88:89], v[96:97]
	v_mul_f64 v[184:185], v[63:64], s[30:31]
	v_add_f64 v[122:123], v[122:123], v[168:169]
	v_add_f64 v[106:107], v[120:121], v[106:107]
	v_fma_f64 v[120:121], v[45:46], s[22:23], v[55:56]
	v_fma_f64 v[168:169], v[19:20], s[36:37], v[57:58]
	v_add_f64 v[98:99], v[128:129], v[98:99]
	v_fma_f64 v[128:129], v[19:20], s[48:49], v[126:127]
	v_fma_f64 v[126:127], v[19:20], s[10:11], v[126:127]
	v_add_f64 v[80:81], v[86:87], v[80:81]
	v_add_f64 v[108:109], v[176:177], v[108:109]
	v_fma_f64 v[176:177], v[45:46], s[18:19], v[124:125]
	v_fma_f64 v[124:125], v[45:46], s[18:19], -v[124:125]
	v_add_f64 v[110:111], v[130:131], v[110:111]
	v_mul_f64 v[130:131], v[65:66], s[40:41]
	v_add_f64 v[174:175], v[1:2], v[174:175]
	v_add_f64 v[180:181], v[3:4], v[180:181]
	;; [unrolled: 1-line block ×8, first 2 shown]
	v_mul_f64 v[65:66], v[65:66], s[20:21]
	v_add_f64 v[122:123], v[186:187], v[122:123]
	v_fma_f64 v[186:187], v[37:38], s[20:21], v[148:149]
	v_add_f64 v[120:121], v[120:121], v[160:161]
	v_add_f64 v[168:169], v[168:169], v[170:171]
	v_fma_f64 v[170:171], v[33:34], s[26:27], v[51:52]
	v_fma_f64 v[148:149], v[37:38], s[50:51], v[148:149]
	v_add_f64 v[106:107], v[126:127], v[106:107]
	v_fma_f64 v[126:127], v[19:20], s[34:35], v[144:145]
	v_fma_f64 v[144:145], v[19:20], s[46:47], v[144:145]
	v_add_f64 v[166:167], v[176:177], v[166:167]
	v_add_f64 v[80:81], v[128:129], v[80:81]
	v_fma_f64 v[128:129], v[45:46], s[38:39], v[142:143]
	v_add_f64 v[88:89], v[124:125], v[88:89]
	v_fma_f64 v[124:125], v[33:34], s[28:29], v[146:147]
	v_fma_f64 v[146:147], v[33:34], s[28:29], -v[146:147]
	v_add_f64 v[108:109], v[134:135], v[108:109]
	v_fma_f64 v[134:135], v[33:34], s[38:39], v[84:85]
	v_add_f64 v[98:99], v[138:139], v[98:99]
	v_fma_f64 v[138:139], v[37:38], s[34:35], v[150:151]
	v_fma_f64 v[142:143], v[45:46], s[38:39], -v[142:143]
	v_fma_f64 v[160:161], v[23:24], s[22:23], v[136:137]
	v_fma_f64 v[176:177], v[37:38], s[42:43], v[53:54]
	v_fma_f64 v[84:85], v[33:34], s[38:39], -v[84:85]
	v_fma_f64 v[150:151], v[37:38], s[46:47], v[150:151]
	v_add_f64 v[110:111], v[140:141], v[110:111]
	v_fma_f64 v[136:137], v[23:24], s[22:23], -v[136:137]
	v_add_f64 v[120:121], v[170:171], v[120:121]
	v_fma_f64 v[170:171], v[27:28], s[28:29], v[17:18]
	v_add_f64 v[106:107], v[148:149], v[106:107]
	v_fma_f64 v[148:149], v[25:26], s[18:19], v[9:10]
	;; [unrolled: 2-line block ×3, first 2 shown]
	v_add_f64 v[80:81], v[186:187], v[80:81]
	v_add_f64 v[128:129], v[128:129], v[172:173]
	v_fma_f64 v[172:173], v[27:28], s[22:23], v[82:83]
	v_add_f64 v[124:125], v[124:125], v[166:167]
	v_fma_f64 v[166:167], v[29:30], s[16:17], v[154:155]
	v_fma_f64 v[82:83], v[27:28], s[22:23], -v[82:83]
	v_fma_f64 v[154:155], v[29:30], s[36:37], v[154:155]
	v_fma_f64 v[186:187], v[27:28], s[30:31], v[156:157]
	v_add_f64 v[88:89], v[146:147], v[88:89]
	v_add_f64 v[122:123], v[134:135], v[122:123]
	;; [unrolled: 1-line block ×3, first 2 shown]
	v_fma_f64 v[138:139], v[49:50], s[16:17], v[164:165]
	v_fma_f64 v[146:147], v[29:30], s[44:45], v[158:159]
	v_add_f64 v[100:101], v[142:143], v[100:101]
	v_fma_f64 v[142:143], v[49:50], s[36:37], v[164:165]
	v_mul_f64 v[63:64], v[63:64], s[28:29]
	v_add_f64 v[90:91], v[1:2], v[90:91]
	v_add_f64 v[120:121], v[170:171], v[120:121]
	v_fma_f64 v[170:171], v[37:38], s[36:37], v[118:119]
	v_fma_f64 v[118:119], v[37:38], s[16:17], v[118:119]
	v_add_f64 v[92:93], v[3:4], v[92:93]
	v_fma_f64 v[67:68], v[49:50], s[46:47], v[67:68]
	v_add_f64 v[94:95], v[1:2], v[94:95]
	v_add_f64 v[104:105], v[3:4], v[104:105]
	v_fma_f64 v[49:50], v[49:50], s[40:41], v[61:62]
	v_fma_f64 v[140:141], v[33:34], s[22:23], v[152:153]
	v_mul_f64 v[86:87], v[41:42], s[48:49]
	v_add_f64 v[168:169], v[176:177], v[168:169]
	v_fma_f64 v[176:177], v[29:30], s[50:51], v[21:22]
	v_add_f64 v[84:85], v[84:85], v[98:99]
	v_add_f64 v[98:99], v[150:151], v[110:111]
	;; [unrolled: 1-line block ×7, first 2 shown]
	v_fma_f64 v[13:14], v[45:46], s[30:31], v[130:131]
	v_fma_f64 v[122:123], v[19:20], s[44:45], v[184:185]
	v_mul_f64 v[61:62], v[43:44], s[18:19]
	v_add_f64 v[1:2], v[148:149], v[120:121]
	v_add_f64 v[120:121], v[138:139], v[180:181]
	;; [unrolled: 1-line block ×3, first 2 shown]
	v_fma_f64 v[118:119], v[23:24], s[38:39], v[69:70]
	v_fma_f64 v[69:70], v[23:24], s[38:39], -v[69:70]
	v_fma_f64 v[23:24], v[23:24], s[30:31], -v[59:60]
	v_mul_f64 v[59:60], v[47:48], s[48:49]
	v_add_f64 v[108:109], v[146:147], v[108:109]
	v_add_f64 v[102:103], v[136:137], v[102:103]
	;; [unrolled: 1-line block ×3, first 2 shown]
	v_fma_f64 v[130:131], v[45:46], s[30:31], -v[130:131]
	v_fma_f64 v[146:147], v[19:20], s[40:41], v[184:185]
	v_add_f64 v[78:79], v[144:145], v[78:79]
	v_fma_f64 v[144:145], v[19:20], s[50:51], v[63:64]
	v_mul_f64 v[47:48], v[47:48], s[44:45]
	v_mul_f64 v[43:44], v[43:44], s[30:31]
	v_add_f64 v[67:68], v[67:68], v[92:93]
	v_fma_f64 v[63:64], v[19:20], s[20:21], v[63:64]
	v_add_f64 v[49:50], v[49:50], v[104:105]
	v_fma_f64 v[19:20], v[19:20], s[16:17], v[57:58]
	v_mul_f64 v[162:163], v[31:32], s[18:19]
	v_add_f64 v[116:117], v[126:127], v[178:179]
	v_add_f64 v[126:127], v[140:141], v[128:129]
	v_mul_f64 v[140:141], v[39:40], s[18:19]
	v_add_f64 v[168:169], v[176:177], v[168:169]
	v_add_f64 v[76:77], v[118:119], v[76:77]
	v_fma_f64 v[118:119], v[45:46], s[28:29], v[65:66]
	v_add_f64 v[69:70], v[69:70], v[90:91]
	v_fma_f64 v[65:66], v[45:46], s[28:29], -v[65:66]
	v_add_f64 v[23:24], v[23:24], v[94:95]
	v_fma_f64 v[45:46], v[45:46], s[22:23], -v[55:56]
	v_fma_f64 v[176:177], v[27:28], s[18:19], v[86:87]
	v_fma_f64 v[152:153], v[33:34], s[22:23], -v[152:153]
	v_add_f64 v[13:14], v[13:14], v[110:111]
	v_add_f64 v[120:121], v[122:123], v[120:121]
	v_fma_f64 v[92:93], v[33:34], s[18:19], v[59:60]
	v_fma_f64 v[94:95], v[37:38], s[10:11], v[61:62]
	v_mul_f64 v[104:105], v[41:42], s[46:47]
	v_fma_f64 v[55:56], v[27:28], s[18:19], -v[86:87]
	v_mul_f64 v[86:87], v[39:40], s[38:39]
	v_add_f64 v[102:103], v[130:131], v[102:103]
	v_add_f64 v[74:75], v[146:147], v[74:75]
	v_fma_f64 v[59:60], v[33:34], s[18:19], -v[59:60]
	v_fma_f64 v[61:62], v[37:38], s[48:49], v[61:62]
	v_add_f64 v[78:79], v[144:145], v[78:79]
	v_fma_f64 v[130:131], v[37:38], s[40:41], v[43:44]
	v_mul_f64 v[41:42], v[41:42], s[24:25]
	v_mul_f64 v[39:40], v[39:40], s[26:27]
	v_add_f64 v[76:77], v[118:119], v[76:77]
	v_fma_f64 v[118:119], v[33:34], s[30:31], v[47:48]
	v_add_f64 v[65:66], v[65:66], v[69:70]
	v_add_f64 v[63:64], v[63:64], v[67:68]
	v_fma_f64 v[47:48], v[33:34], s[30:31], -v[47:48]
	v_fma_f64 v[43:44], v[37:38], s[44:45], v[43:44]
	v_add_f64 v[23:24], v[45:46], v[23:24]
	v_add_f64 v[19:20], v[19:20], v[49:50]
	v_fma_f64 v[33:34], v[33:34], s[26:27], -v[51:52]
	v_fma_f64 v[37:38], v[37:38], s[24:25], v[53:54]
	v_mul_f64 v[96:97], v[35:36], s[46:47]
	v_mul_f64 v[132:133], v[31:32], s[38:39]
	v_fma_f64 v[134:135], v[11:12], s[48:49], v[162:163]
	v_add_f64 v[7:8], v[15:16], v[7:8]
	v_mul_f64 v[15:16], v[35:36], s[20:21]
	v_mul_f64 v[128:129], v[31:32], s[28:29]
	v_add_f64 v[116:117], v[170:171], v[116:117]
	v_fma_f64 v[136:137], v[29:30], s[10:11], v[140:141]
	v_mul_f64 v[142:143], v[35:36], s[44:45]
	v_mul_f64 v[90:91], v[31:32], s[30:31]
	v_add_f64 v[100:101], v[152:153], v[100:101]
	v_fma_f64 v[57:58], v[29:30], s[48:49], v[140:141]
	v_add_f64 v[13:14], v[92:93], v[13:14]
	v_add_f64 v[67:68], v[94:95], v[120:121]
	v_fma_f64 v[69:70], v[27:28], s[38:39], v[104:105]
	v_fma_f64 v[45:46], v[29:30], s[34:35], v[86:87]
	v_mul_f64 v[49:50], v[35:36], s[24:25]
	v_mul_f64 v[51:52], v[31:32], s[26:27]
	v_add_f64 v[53:54], v[59:60], v[102:103]
	v_add_f64 v[59:60], v[61:62], v[74:75]
	v_fma_f64 v[61:62], v[27:28], s[38:39], -v[104:105]
	v_fma_f64 v[74:75], v[29:30], s[46:47], v[86:87]
	v_add_f64 v[76:77], v[118:119], v[76:77]
	v_add_f64 v[78:79], v[130:131], v[78:79]
	v_fma_f64 v[86:87], v[27:28], s[26:27], v[41:42]
	v_fma_f64 v[92:93], v[29:30], s[42:43], v[39:40]
	v_mul_f64 v[35:36], v[35:36], s[36:37]
	v_mul_f64 v[31:32], v[31:32], s[22:23]
	v_add_f64 v[47:48], v[47:48], v[65:66]
	v_add_f64 v[43:44], v[43:44], v[63:64]
	v_fma_f64 v[41:42], v[27:28], s[26:27], -v[41:42]
	v_fma_f64 v[39:40], v[29:30], s[24:25], v[39:40]
	v_add_f64 v[23:24], v[33:34], v[23:24]
	v_add_f64 v[19:20], v[37:38], v[19:20]
	v_fma_f64 v[17:18], v[27:28], s[28:29], -v[17:18]
	v_fma_f64 v[21:22], v[29:30], s[20:21], v[21:22]
	v_fma_f64 v[156:157], v[27:28], s[30:31], -v[156:157]
	v_fma_f64 v[158:159], v[29:30], s[40:41], v[158:159]
	v_add_f64 v[124:125], v[172:173], v[124:125]
	v_add_f64 v[80:81], v[166:167], v[80:81]
	;; [unrolled: 1-line block ×3, first 2 shown]
	v_fma_f64 v[134:135], v[25:26], s[38:39], v[96:97]
	v_fma_f64 v[138:139], v[11:12], s[34:35], v[132:133]
	;; [unrolled: 1-line block ×4, first 2 shown]
	v_add_f64 v[126:127], v[176:177], v[126:127]
	v_add_f64 v[63:64], v[136:137], v[116:117]
	v_fma_f64 v[65:66], v[25:26], s[30:31], v[142:143]
	v_fma_f64 v[94:95], v[11:12], s[40:41], v[90:91]
	v_add_f64 v[29:30], v[55:56], v[100:101]
	v_add_f64 v[55:56], v[57:58], v[114:115]
	v_fma_f64 v[33:34], v[25:26], s[30:31], -v[142:143]
	v_add_f64 v[37:38], v[69:70], v[13:14]
	v_add_f64 v[45:46], v[45:46], v[67:68]
	v_fma_f64 v[57:58], v[25:26], s[26:27], v[49:50]
	v_fma_f64 v[67:68], v[11:12], s[42:43], v[51:52]
	v_add_f64 v[53:54], v[61:62], v[53:54]
	v_add_f64 v[59:60], v[74:75], v[59:60]
	;; [unrolled: 1-line block ×4, first 2 shown]
	v_fma_f64 v[74:75], v[25:26], s[22:23], v[35:36]
	v_fma_f64 v[76:77], v[11:12], s[16:17], v[31:32]
	v_add_f64 v[41:42], v[41:42], v[47:48]
	v_add_f64 v[43:44], v[39:40], v[43:44]
	v_fma_f64 v[47:48], v[25:26], s[22:23], -v[35:36]
	v_fma_f64 v[31:32], v[11:12], s[36:37], v[31:32]
	v_fma_f64 v[49:50], v[25:26], s[26:27], -v[49:50]
	v_fma_f64 v[51:52], v[11:12], s[24:25], v[51:52]
	v_fma_f64 v[78:79], v[11:12], s[44:45], v[90:91]
	v_add_f64 v[86:87], v[17:18], v[23:24]
	v_add_f64 v[90:91], v[21:22], v[19:20]
	v_fma_f64 v[92:93], v[25:26], s[18:19], -v[9:10]
	v_fma_f64 v[100:101], v[11:12], s[10:11], v[162:163]
	v_add_f64 v[84:85], v[156:157], v[84:85]
	v_add_f64 v[98:99], v[158:159], v[98:99]
	v_fma_f64 v[15:16], v[25:26], s[28:29], -v[15:16]
	v_fma_f64 v[128:129], v[11:12], s[20:21], v[128:129]
	v_fma_f64 v[96:97], v[25:26], s[38:39], -v[96:97]
	v_fma_f64 v[132:133], v[11:12], s[46:47], v[132:133]
	v_add_f64 v[9:10], v[134:135], v[124:125]
	v_add_f64 v[11:12], v[138:139], v[80:81]
	;; [unrolled: 1-line block ×22, first 2 shown]
	v_mad_u32_u24 v53, 0xd0, v72, v73
	ds_write_b128 v53, v[5:8]
	ds_write_b128 v53, v[1:4] offset:16
	ds_write_b128 v53, v[9:12] offset:32
	;; [unrolled: 1-line block ×7, first 2 shown]
	v_mul_u32_u24_e32 v1, 12, v72
	ds_write_b128 v53, v[45:48] offset:128
	ds_write_b128 v53, v[29:32] offset:144
	;; [unrolled: 1-line block ×4, first 2 shown]
	v_lshlrev_b32_e32 v1, 4, v1
	ds_write_b128 v53, v[49:52] offset:192
	s_waitcnt lgkmcnt(0)
	s_barrier
	buffer_gl0_inv
	s_clause 0xb
	global_load_dwordx4 v[7:10], v1, s[8:9]
	global_load_dwordx4 v[11:14], v1, s[8:9] offset:176
	global_load_dwordx4 v[15:18], v1, s[8:9] offset:16
	;; [unrolled: 1-line block ×11, first 2 shown]
	ds_read_b128 v[49:52], v113 offset:208
	ds_read_b128 v[61:64], v113 offset:2496
	;; [unrolled: 1-line block ×12, first 2 shown]
	ds_read_b128 v[1:4], v71
	s_waitcnt vmcnt(0) lgkmcnt(0)
	s_barrier
	buffer_gl0_inv
	s_mul_i32 s9, s13, s1
	s_mov_b32 s8, 0
	v_mul_f64 v[5:6], v[49:50], v[9:10]
	v_mul_f64 v[43:44], v[61:62], v[13:14]
	v_mul_f64 v[9:10], v[51:52], v[9:10]
	v_mul_f64 v[69:70], v[65:66], v[17:18]
	v_mul_f64 v[13:14], v[63:64], v[13:14]
	v_mul_f64 v[99:100], v[72:73], v[21:22]
	v_mul_f64 v[114:115], v[78:79], v[25:26]
	v_mul_f64 v[25:26], v[76:77], v[25:26]
	v_mul_f64 v[17:18], v[67:68], v[17:18]
	v_mul_f64 v[116:117], v[82:83], v[29:30]
	v_mul_f64 v[29:30], v[80:81], v[29:30]
	v_mul_f64 v[118:119], v[86:87], v[33:34]
	v_mul_f64 v[21:22], v[74:75], v[21:22]
	v_mul_f64 v[33:34], v[84:85], v[33:34]
	v_mul_f64 v[120:121], v[88:89], v[37:38]
	v_mul_f64 v[122:123], v[94:95], v[41:42]
	v_mul_f64 v[126:127], v[105:106], v[47:48]
	v_mul_f64 v[128:129], v[103:104], v[55:56]
	v_mul_f64 v[130:131], v[109:110], v[59:60]
	v_mul_f64 v[59:60], v[111:112], v[59:60]
	v_mul_f64 v[37:38], v[90:91], v[37:38]
	v_mul_f64 v[124:125], v[92:93], v[41:42]
	v_fma_f64 v[132:133], v[51:52], v[7:8], -v[5:6]
	v_fma_f64 v[5:6], v[63:64], v[11:12], -v[43:44]
	v_fma_f64 v[134:135], v[49:50], v[7:8], v[9:10]
	v_fma_f64 v[97:98], v[67:68], v[15:16], -v[69:70]
	v_fma_f64 v[7:8], v[61:62], v[11:12], v[13:14]
	;; [unrolled: 2-line block ×3, first 2 shown]
	v_fma_f64 v[63:64], v[78:79], v[23:24], -v[25:26]
	v_mul_f64 v[47:48], v[107:108], v[47:48]
	v_mul_f64 v[55:56], v[101:102], v[55:56]
	v_fma_f64 v[99:100], v[65:66], v[15:16], v[17:18]
	v_fma_f64 v[49:50], v[80:81], v[27:28], v[116:117]
	;; [unrolled: 1-line block ×3, first 2 shown]
	v_fma_f64 v[51:52], v[82:83], v[27:28], -v[29:30]
	v_fma_f64 v[13:14], v[90:91], v[35:36], -v[120:121]
	v_fma_f64 v[43:44], v[84:85], v[31:32], v[118:119]
	v_fma_f64 v[41:42], v[86:87], v[31:32], -v[33:34]
	v_fma_f64 v[17:18], v[107:108], v[45:46], -v[126:127]
	v_fma_f64 v[31:32], v[92:93], v[39:40], v[122:123]
	v_fma_f64 v[21:22], v[111:112], v[57:58], -v[130:131]
	v_fma_f64 v[23:24], v[109:110], v[57:58], v[59:60]
	v_fma_f64 v[27:28], v[101:102], v[53:54], v[128:129]
	v_add_f64 v[111:112], v[3:4], v[132:133]
	v_add_f64 v[75:76], v[132:133], -v[5:6]
	v_add_f64 v[77:78], v[132:133], v[5:6]
	v_add_f64 v[109:110], v[1:2], v[134:135]
	v_add_f64 v[91:92], v[134:135], v[7:8]
	v_add_f64 v[85:86], v[134:135], -v[7:8]
	v_add_f64 v[107:108], v[97:98], -v[9:10]
	v_add_f64 v[101:102], v[97:98], v[9:10]
	v_fma_f64 v[15:16], v[88:89], v[35:36], v[37:38]
	v_fma_f64 v[29:30], v[94:95], v[39:40], -v[124:125]
	v_fma_f64 v[25:26], v[103:104], v[53:54], -v[55:56]
	v_fma_f64 v[19:20], v[105:106], v[45:46], v[47:48]
	v_add_f64 v[79:80], v[99:100], v[11:12]
	v_add_f64 v[71:72], v[99:100], -v[11:12]
	v_add_f64 v[73:74], v[63:64], -v[13:14]
	v_add_f64 v[53:54], v[63:64], v[13:14]
	v_add_f64 v[59:60], v[51:52], -v[17:18]
	v_add_f64 v[57:58], v[51:52], v[17:18]
	;; [unrolled: 2-line block ×3, first 2 shown]
	v_add_f64 v[45:46], v[43:44], v[23:24]
	v_add_f64 v[97:98], v[111:112], v[97:98]
	v_mul_f64 v[114:115], v[75:76], s[34:35]
	v_mul_f64 v[116:117], v[77:78], s[38:39]
	;; [unrolled: 1-line block ×16, first 2 shown]
	v_add_f64 v[99:100], v[109:110], v[99:100]
	v_mul_f64 v[109:110], v[107:108], s[10:11]
	v_mul_f64 v[111:112], v[107:108], s[50:51]
	v_mul_f64 v[146:147], v[107:108], s[36:37]
	v_mul_f64 v[107:108], v[107:108], s[46:47]
	v_mul_f64 v[148:149], v[101:102], s[18:19]
	v_mul_f64 v[152:153], v[101:102], s[22:23]
	v_fma_f64 v[154:155], v[91:92], s[38:39], v[114:115]
	v_fma_f64 v[156:157], v[85:86], s[46:47], v[116:117]
	v_fma_f64 v[114:115], v[91:92], s[38:39], -v[114:115]
	v_fma_f64 v[158:159], v[91:92], s[30:31], v[118:119]
	v_fma_f64 v[118:119], v[91:92], s[30:31], -v[118:119]
	;; [unrolled: 2-line block ×3, first 2 shown]
	v_fma_f64 v[166:167], v[91:92], s[26:27], v[126:127]
	v_fma_f64 v[116:117], v[85:86], s[34:35], v[116:117]
	v_fma_f64 v[126:127], v[91:92], s[26:27], -v[126:127]
	v_fma_f64 v[168:169], v[85:86], s[44:45], v[130:131]
	v_fma_f64 v[170:171], v[91:92], s[28:29], v[128:129]
	v_fma_f64 v[130:131], v[85:86], s[40:41], v[130:131]
	v_fma_f64 v[128:129], v[91:92], s[28:29], -v[128:129]
	v_fma_f64 v[172:173], v[85:86], s[36:37], v[134:135]
	;; [unrolled: 4-line block ×3, first 2 shown]
	v_fma_f64 v[136:137], v[85:86], s[24:25], v[136:137]
	v_fma_f64 v[176:177], v[85:86], s[50:51], v[138:139]
	;; [unrolled: 1-line block ×5, first 2 shown]
	v_add_f64 v[33:34], v[61:62], v[15:16]
	v_add_f64 v[35:36], v[61:62], -v[15:16]
	v_mul_f64 v[105:106], v[73:74], s[16:17]
	v_mul_f64 v[103:104], v[53:54], s[22:23]
	;; [unrolled: 1-line block ×4, first 2 shown]
	v_fma_f64 v[162:163], v[79:80], s[30:31], v[122:123]
	v_fma_f64 v[164:165], v[71:72], s[44:45], v[124:125]
	;; [unrolled: 1-line block ×4, first 2 shown]
	v_fma_f64 v[142:143], v[79:80], s[26:27], -v[142:143]
	v_fma_f64 v[144:145], v[71:72], s[24:25], v[144:145]
	v_add_f64 v[61:62], v[99:100], v[61:62]
	v_add_f64 v[63:64], v[97:98], v[63:64]
	v_fma_f64 v[97:98], v[79:80], s[18:19], v[109:110]
	v_fma_f64 v[99:100], v[79:80], s[18:19], -v[109:110]
	v_fma_f64 v[109:110], v[79:80], s[28:29], v[111:112]
	v_fma_f64 v[111:112], v[79:80], s[28:29], -v[111:112]
	;; [unrolled: 2-line block ×4, first 2 shown]
	v_fma_f64 v[79:80], v[79:80], s[30:31], -v[122:123]
	v_fma_f64 v[122:123], v[71:72], s[48:49], v[148:149]
	v_add_f64 v[154:155], v[1:2], v[154:155]
	v_add_f64 v[156:157], v[3:4], v[156:157]
	;; [unrolled: 1-line block ×15, first 2 shown]
	v_fma_f64 v[85:86], v[71:72], s[16:17], v[152:153]
	v_add_f64 v[37:38], v[49:50], v[19:20]
	v_add_f64 v[39:40], v[49:50], -v[19:20]
	v_fma_f64 v[148:149], v[71:72], s[10:11], v[148:149]
	v_fma_f64 v[186:187], v[71:72], s[20:21], v[150:151]
	;; [unrolled: 1-line block ×3, first 2 shown]
	v_add_f64 v[114:115], v[1:2], v[114:115]
	v_add_f64 v[158:159], v[1:2], v[158:159]
	;; [unrolled: 1-line block ×9, first 2 shown]
	v_fma_f64 v[91:92], v[71:72], s[36:37], v[152:153]
	v_fma_f64 v[152:153], v[71:72], s[34:35], v[101:102]
	;; [unrolled: 1-line block ×4, first 2 shown]
	v_mul_f64 v[124:125], v[73:74], s[10:11]
	v_add_f64 v[49:50], v[61:62], v[49:50]
	v_mul_f64 v[61:62], v[53:54], s[18:19]
	v_add_f64 v[51:52], v[63:64], v[51:52]
	v_add_f64 v[154:155], v[162:163], v[154:155]
	;; [unrolled: 1-line block ×4, first 2 shown]
	v_mul_f64 v[144:145], v[73:74], s[42:43]
	v_add_f64 v[122:123], v[122:123], v[172:173]
	v_mul_f64 v[172:173], v[73:74], s[46:47]
	v_add_f64 v[99:100], v[99:100], v[120:121]
	;; [unrolled: 2-line block ×3, first 2 shown]
	v_fma_f64 v[182:183], v[33:34], s[22:23], v[105:106]
	v_add_f64 v[85:86], v[85:86], v[176:177]
	v_fma_f64 v[176:177], v[35:36], s[36:37], v[103:104]
	v_mul_f64 v[93:94], v[59:60], s[24:25]
	v_mul_f64 v[63:64], v[59:60], s[50:51]
	v_mul_f64 v[162:163], v[57:58], s[28:29]
	v_add_f64 v[140:141], v[140:141], v[158:159]
	v_add_f64 v[168:169], v[180:181], v[168:169]
	;; [unrolled: 1-line block ×3, first 2 shown]
	v_mul_f64 v[160:161], v[53:54], s[26:27]
	v_add_f64 v[109:110], v[109:110], v[166:167]
	v_add_f64 v[132:133], v[186:187], v[132:133]
	;; [unrolled: 1-line block ×3, first 2 shown]
	v_fma_f64 v[138:139], v[33:34], s[18:19], v[124:125]
	v_add_f64 v[152:153], v[152:153], v[178:179]
	v_fma_f64 v[178:179], v[35:36], s[48:49], v[61:62]
	v_add_f64 v[41:42], v[51:52], v[41:42]
	v_fma_f64 v[51:52], v[33:34], s[26:27], v[144:145]
	v_fma_f64 v[144:145], v[33:34], s[26:27], -v[144:145]
	v_add_f64 v[55:56], v[43:44], -v[23:24]
	v_mul_f64 v[87:88], v[47:48], s[20:21]
	v_add_f64 v[134:135], v[148:149], v[134:135]
	v_add_f64 v[154:155], v[182:183], v[154:155]
	v_fma_f64 v[182:183], v[33:34], s[38:39], v[172:173]
	v_add_f64 v[156:157], v[176:177], v[156:157]
	v_fma_f64 v[176:177], v[35:36], s[34:35], v[120:121]
	v_add_f64 v[111:112], v[111:112], v[126:127]
	v_mul_f64 v[126:127], v[57:58], s[38:39]
	v_add_f64 v[136:137], v[150:151], v[136:137]
	v_mul_f64 v[150:151], v[59:60], s[16:17]
	;; [unrolled: 2-line block ×3, first 2 shown]
	v_add_f64 v[43:44], v[49:50], v[43:44]
	v_add_f64 v[107:108], v[107:108], v[1:2]
	v_fma_f64 v[1:2], v[35:36], s[24:25], v[160:161]
	v_fma_f64 v[160:161], v[35:36], s[42:43], v[160:161]
	v_add_f64 v[138:139], v[138:139], v[140:141]
	v_add_f64 v[168:169], v[178:179], v[168:169]
	;; [unrolled: 1-line block ×3, first 2 shown]
	v_mul_f64 v[148:149], v[73:74], s[40:41]
	v_add_f64 v[99:100], v[144:145], v[99:100]
	v_fma_f64 v[144:145], v[37:38], s[26:27], v[93:94]
	v_fma_f64 v[124:125], v[33:34], s[18:19], -v[124:125]
	v_mul_f64 v[95:96], v[57:58], s[26:27]
	v_add_f64 v[81:82], v[29:30], -v[25:26]
	v_add_f64 v[109:110], v[182:183], v[109:110]
	v_fma_f64 v[182:183], v[37:38], s[28:29], v[63:64]
	v_add_f64 v[132:133], v[176:177], v[132:133]
	v_fma_f64 v[176:177], v[39:40], s[20:21], v[162:163]
	v_add_f64 v[67:68], v[31:32], v[27:28]
	v_add_f64 v[83:84], v[29:30], v[25:26]
	v_add_f64 v[69:70], v[31:32], -v[27:28]
	v_mul_f64 v[49:50], v[65:66], s[30:31]
	v_add_f64 v[101:102], v[101:102], v[3:4]
	v_mul_f64 v[3:4], v[47:48], s[48:49]
	v_mul_f64 v[140:141], v[65:66], s[18:19]
	v_add_f64 v[31:32], v[43:44], v[31:32]
	v_add_f64 v[134:135], v[160:161], v[134:135]
	v_fma_f64 v[43:44], v[39:40], s[34:35], v[126:127]
	v_add_f64 v[29:30], v[41:42], v[29:30]
	v_fma_f64 v[126:127], v[39:40], s[46:47], v[126:127]
	v_mul_f64 v[186:187], v[59:60], s[46:47]
	v_mul_f64 v[89:90], v[65:66], s[28:29]
	v_add_f64 v[144:145], v[144:145], v[154:155]
	v_fma_f64 v[154:155], v[37:38], s[22:23], v[150:151]
	v_add_f64 v[118:119], v[124:125], v[118:119]
	v_fma_f64 v[124:125], v[33:34], s[30:31], v[148:149]
	v_mul_f64 v[164:165], v[47:48], s[36:37]
	v_add_f64 v[138:139], v[182:183], v[138:139]
	v_fma_f64 v[182:183], v[39:40], s[36:37], v[146:147]
	v_add_f64 v[168:169], v[176:177], v[168:169]
	v_fma_f64 v[176:177], v[45:46], s[28:29], v[87:88]
	v_fma_f64 v[61:62], v[35:36], s[10:11], v[61:62]
	v_fma_f64 v[172:173], v[33:34], s[38:39], -v[172:173]
	v_add_f64 v[1:2], v[1:2], v[122:123]
	v_fma_f64 v[160:161], v[39:40], s[42:43], v[95:96]
	v_fma_f64 v[63:64], v[37:38], s[28:29], -v[63:64]
	v_mul_f64 v[158:159], v[65:66], s[22:23]
	v_add_f64 v[27:28], v[31:32], v[27:28]
	v_fma_f64 v[31:32], v[55:56], s[44:45], v[49:50]
	v_fma_f64 v[49:50], v[55:56], s[40:41], v[49:50]
	v_add_f64 v[25:26], v[29:30], v[25:26]
	v_add_f64 v[126:127], v[126:127], v[134:135]
	v_fma_f64 v[29:30], v[45:46], s[18:19], v[3:4]
	v_mul_f64 v[166:167], v[53:54], s[30:31]
	v_mul_f64 v[77:78], v[83:84], s[18:19]
	v_add_f64 v[109:110], v[154:155], v[109:110]
	v_mul_f64 v[180:181], v[81:82], s[46:47]
	v_add_f64 v[124:125], v[124:125], v[170:171]
	v_fma_f64 v[170:171], v[37:38], s[38:39], v[186:187]
	v_fma_f64 v[186:187], v[37:38], s[38:39], -v[186:187]
	v_add_f64 v[132:133], v[182:183], v[132:133]
	v_mul_f64 v[73:74], v[73:74], s[20:21]
	v_add_f64 v[144:145], v[176:177], v[144:145]
	v_fma_f64 v[176:177], v[55:56], s[10:11], v[140:141]
	v_mul_f64 v[53:54], v[53:54], s[28:29]
	v_fma_f64 v[120:121], v[35:36], s[46:47], v[120:121]
	v_add_f64 v[61:62], v[61:62], v[130:131]
	v_add_f64 v[51:52], v[51:52], v[97:98]
	;; [unrolled: 1-line block ×3, first 2 shown]
	v_fma_f64 v[162:163], v[39:40], s[50:51], v[162:163]
	v_add_f64 v[156:157], v[160:161], v[156:157]
	v_add_f64 v[63:64], v[63:64], v[118:119]
	v_fma_f64 v[118:119], v[55:56], s[50:51], v[89:90]
	v_fma_f64 v[150:151], v[37:38], s[22:23], -v[150:151]
	v_add_f64 v[1:2], v[43:44], v[1:2]
	v_fma_f64 v[43:44], v[45:46], s[22:23], v[164:165]
	v_fma_f64 v[164:165], v[45:46], s[22:23], -v[164:165]
	v_mul_f64 v[178:179], v[59:60], s[48:49]
	v_add_f64 v[49:50], v[49:50], v[126:127]
	v_add_f64 v[29:30], v[29:30], v[109:110]
	;; [unrolled: 1-line block ×3, first 2 shown]
	v_mul_f64 v[130:131], v[57:58], s[18:19]
	v_add_f64 v[99:100], v[186:187], v[99:100]
	v_fma_f64 v[186:187], v[55:56], s[16:17], v[158:159]
	v_fma_f64 v[182:183], v[35:36], s[44:45], v[166:167]
	v_add_f64 v[109:110], v[176:177], v[132:133]
	v_add_f64 v[132:133], v[25:26], v[21:22]
	v_mul_f64 v[142:143], v[83:84], s[38:39]
	v_add_f64 v[174:175], v[184:185], v[174:175]
	v_mul_f64 v[184:185], v[47:48], s[40:41]
	;; [unrolled: 2-line block ×3, first 2 shown]
	v_mul_f64 v[57:58], v[57:58], s[30:31]
	v_fma_f64 v[146:147], v[39:40], s[16:17], v[146:147]
	v_add_f64 v[61:62], v[162:163], v[61:62]
	v_add_f64 v[51:52], v[170:171], v[51:52]
	v_fma_f64 v[170:171], v[69:70], s[48:49], v[77:78]
	v_fma_f64 v[134:135], v[67:68], s[38:39], v[180:181]
	;; [unrolled: 1-line block ×3, first 2 shown]
	v_fma_f64 v[180:181], v[67:68], s[38:39], -v[180:181]
	v_fma_f64 v[148:149], v[33:34], s[30:31], -v[148:149]
	v_fma_f64 v[166:167], v[35:36], s[40:41], v[166:167]
	v_add_f64 v[111:112], v[150:151], v[111:112]
	v_fma_f64 v[150:151], v[33:34], s[28:29], v[73:74]
	v_fma_f64 v[3:4], v[45:46], s[18:19], -v[3:4]
	v_add_f64 v[118:119], v[118:119], v[156:157]
	v_fma_f64 v[156:157], v[35:36], s[50:51], v[53:54]
	v_add_f64 v[43:44], v[43:44], v[138:139]
	v_add_f64 v[63:64], v[164:165], v[63:64]
	v_fma_f64 v[73:74], v[33:34], s[28:29], -v[73:74]
	v_fma_f64 v[53:54], v[35:36], s[20:21], v[53:54]
	v_add_f64 v[79:80], v[79:80], v[114:115]
	v_add_f64 v[71:72], v[71:72], v[116:117]
	v_fma_f64 v[33:34], v[33:34], s[22:23], -v[105:106]
	v_fma_f64 v[35:36], v[35:36], s[16:17], v[103:104]
	v_mul_f64 v[41:42], v[47:48], s[46:47]
	v_fma_f64 v[138:139], v[37:38], s[18:19], v[178:179]
	v_add_f64 v[19:20], v[126:127], v[19:20]
	v_add_f64 v[17:18], v[132:133], v[17:18]
	v_mul_f64 v[160:161], v[65:66], s[38:39]
	v_add_f64 v[168:169], v[186:187], v[168:169]
	v_fma_f64 v[186:187], v[39:40], s[10:11], v[130:131]
	v_add_f64 v[85:86], v[182:183], v[85:86]
	v_mul_f64 v[97:98], v[81:82], s[20:21]
	v_mul_f64 v[122:123], v[83:84], s[28:29]
	;; [unrolled: 1-line block ×3, first 2 shown]
	v_fma_f64 v[154:155], v[69:70], s[34:35], v[142:143]
	v_fma_f64 v[142:143], v[69:70], s[46:47], v[142:143]
	v_add_f64 v[120:121], v[146:147], v[120:121]
	v_fma_f64 v[146:147], v[45:46], s[30:31], v[184:185]
	v_add_f64 v[61:62], v[158:159], v[61:62]
	v_add_f64 v[128:129], v[148:149], v[128:129]
	;; [unrolled: 1-line block ×9, first 2 shown]
	v_fma_f64 v[63:64], v[37:38], s[18:19], -v[178:179]
	v_fma_f64 v[118:119], v[39:40], s[48:49], v[130:131]
	v_fma_f64 v[114:115], v[37:38], s[30:31], v[59:60]
	;; [unrolled: 1-line block ×3, first 2 shown]
	v_mul_f64 v[47:48], v[47:48], s[24:25]
	v_mul_f64 v[65:66], v[65:66], s[26:27]
	v_add_f64 v[73:74], v[73:74], v[107:108]
	v_add_f64 v[53:54], v[53:54], v[101:102]
	v_fma_f64 v[59:60], v[37:38], s[30:31], -v[59:60]
	v_fma_f64 v[57:58], v[39:40], s[44:45], v[57:58]
	v_add_f64 v[33:34], v[33:34], v[79:80]
	v_add_f64 v[35:36], v[35:36], v[71:72]
	v_fma_f64 v[37:38], v[37:38], s[26:27], -v[93:94]
	v_fma_f64 v[39:40], v[39:40], s[24:25], v[95:96]
	v_add_f64 v[103:104], v[138:139], v[124:125]
	v_fma_f64 v[101:102], v[45:46], s[38:39], v[41:42]
	v_add_f64 v[15:16], v[19:20], v[15:16]
	v_add_f64 v[13:14], v[17:18], v[13:14]
	v_mul_f64 v[75:76], v[81:82], s[10:11]
	v_mul_f64 v[136:137], v[83:84], s[30:31]
	v_fma_f64 v[184:185], v[45:46], s[30:31], -v[184:185]
	v_add_f64 v[85:86], v[186:187], v[85:86]
	v_fma_f64 v[107:108], v[55:56], s[34:35], v[160:161]
	v_mul_f64 v[124:125], v[81:82], s[24:25]
	v_mul_f64 v[126:127], v[83:84], s[26:27]
	v_fma_f64 v[140:141], v[55:56], s[48:49], v[140:141]
	v_fma_f64 v[164:165], v[67:68], s[28:29], v[97:98]
	v_fma_f64 v[158:159], v[69:70], s[50:51], v[122:123]
	v_fma_f64 v[122:123], v[69:70], s[20:21], v[122:123]
	v_add_f64 v[51:52], v[146:147], v[51:52]
	v_add_f64 v[27:28], v[142:143], v[61:62]
	v_fma_f64 v[61:62], v[67:68], s[30:31], v[172:173]
	v_add_f64 v[63:64], v[63:64], v[128:129]
	v_add_f64 v[91:92], v[118:119], v[91:92]
	v_fma_f64 v[41:42], v[45:46], s[38:39], -v[41:42]
	v_fma_f64 v[118:119], v[55:56], s[46:47], v[160:161]
	v_add_f64 v[114:115], v[114:115], v[148:149]
	v_add_f64 v[43:44], v[116:117], v[43:44]
	v_fma_f64 v[71:72], v[45:46], s[26:27], v[47:48]
	v_fma_f64 v[79:80], v[55:56], s[42:43], v[65:66]
	v_mul_f64 v[81:82], v[81:82], s[36:37]
	v_mul_f64 v[83:84], v[83:84], s[22:23]
	v_add_f64 v[17:18], v[59:60], v[73:74]
	v_add_f64 v[19:20], v[57:58], v[53:54]
	v_fma_f64 v[47:48], v[45:46], s[26:27], -v[47:48]
	v_fma_f64 v[53:54], v[55:56], s[24:25], v[65:66]
	v_fma_f64 v[57:58], v[67:68], s[30:31], -v[172:173]
	v_add_f64 v[37:38], v[37:38], v[33:34]
	v_add_f64 v[39:40], v[39:40], v[35:36]
	v_fma_f64 v[45:46], v[45:46], s[28:29], -v[87:88]
	v_fma_f64 v[55:56], v[55:56], s[20:21], v[89:90]
	v_add_f64 v[65:66], v[101:102], v[103:104]
	v_add_f64 v[89:90], v[15:16], v[11:12]
	;; [unrolled: 1-line block ×3, first 2 shown]
	v_fma_f64 v[162:163], v[67:68], s[18:19], v[75:76]
	v_add_f64 v[31:32], v[31:32], v[1:2]
	v_fma_f64 v[97:98], v[67:68], s[28:29], -v[97:98]
	v_add_f64 v[99:100], v[184:185], v[99:100]
	v_fma_f64 v[105:106], v[69:70], s[40:41], v[136:137]
	v_add_f64 v[73:74], v[107:108], v[85:86]
	v_fma_f64 v[85:86], v[67:68], s[26:27], v[124:125]
	v_fma_f64 v[93:94], v[69:70], s[42:43], v[126:127]
	v_add_f64 v[41:42], v[41:42], v[63:64]
	v_add_f64 v[63:64], v[118:119], v[91:92]
	v_fma_f64 v[91:92], v[67:68], s[26:27], -v[124:125]
	v_add_f64 v[71:72], v[71:72], v[114:115]
	v_add_f64 v[43:44], v[79:80], v[43:44]
	v_fma_f64 v[79:80], v[67:68], s[22:23], v[81:82]
	v_fma_f64 v[87:88], v[69:70], s[16:17], v[83:84]
	v_add_f64 v[103:104], v[47:48], v[17:18]
	v_add_f64 v[9:10], v[164:165], v[51:52]
	;; [unrolled: 1-line block ×7, first 2 shown]
	v_fma_f64 v[55:56], v[67:68], s[18:19], -v[75:76]
	v_fma_f64 v[57:58], v[69:70], s[10:11], v[77:78]
	v_add_f64 v[53:54], v[53:54], v[19:20]
	v_fma_f64 v[81:82], v[67:68], s[22:23], -v[81:82]
	v_fma_f64 v[83:84], v[69:70], s[36:37], v[83:84]
	v_fma_f64 v[95:96], v[69:70], s[24:25], v[126:127]
	v_add_f64 v[45:46], v[89:90], v[7:8]
	v_add_f64 v[47:48], v[101:102], v[5:6]
	;; [unrolled: 1-line block ×4, first 2 shown]
	v_fma_f64 v[59:60], v[69:70], s[44:45], v[136:137]
	v_add_f64 v[23:24], v[154:155], v[168:169]
	v_add_f64 v[11:12], v[158:159], v[31:32]
	;; [unrolled: 1-line block ×9, first 2 shown]
	ds_write_b128 v113, v[45:48]
	ds_write_b128 v113, v[1:4] offset:208
	ds_write_b128 v113, v[21:24] offset:416
	;; [unrolled: 1-line block ×3, first 2 shown]
	v_add_f64 v[49:50], v[55:56], v[49:50]
	v_add_f64 v[51:52], v[57:58], v[51:52]
	;; [unrolled: 1-line block ×5, first 2 shown]
	v_mul_hi_u32 v9, 0x15555556, v0
	v_add_f64 v[31:32], v[59:60], v[120:121]
	s_mul_hi_u32 s10, s12, s1
	s_mul_i32 s11, s12, s1
	s_add_i32 s10, s10, s9
	s_add_u32 s9, s11, s52
	s_mul_hi_u32 s11, s6, s33
	s_mul_i32 s6, s6, s33
	v_mul_u32_u24_e32 v1, 12, v9
	s_addc_u32 s10, s10, 0
	s_add_i32 s11, s11, s7
	s_add_u32 s6, s9, s6
	s_addc_u32 s7, s10, s11
	v_sub_nc_u32_e32 v10, v0, v1
	s_andn2_b32 vcc_lo, exec_lo, s3
	ds_write_b128 v113, v[17:20] offset:832
	ds_write_b128 v113, v[33:36] offset:1040
	;; [unrolled: 1-line block ×9, first 2 shown]
	s_waitcnt lgkmcnt(0)
	s_barrier
	buffer_gl0_inv
	s_cbranch_vccnz .LBB0_10
; %bb.7:
	v_mad_u64_u32 v[2:3], null, s12, v10, 0
	v_mul_lo_u32 v5, v9, s2
	v_mov_b32_e32 v6, 0
	s_mul_i32 s9, s2, 13
	s_lshl_b64 s[10:11], s[6:7], 4
	s_mov_b32 s3, 0
	s_add_u32 s8, s4, s10
	v_mov_b32_e32 v1, v3
	s_addc_u32 s10, s5, s11
	v_lshlrev_b64 v[7:8], 4, v[5:6]
	v_add_nc_u32_e32 v5, s9, v5
	v_mad_u64_u32 v[3:4], null, s13, v10, v[1:2]
	v_mul_i32_i24_e32 v1, 0xaa0, v10
	v_lshlrev_b32_e32 v4, 4, v9
	v_lshlrev_b64 v[21:22], 4, v[5:6]
	v_add_nc_u32_e32 v5, s9, v5
	v_add3_u32 v1, 0, v1, v4
	v_lshlrev_b64 v[2:3], 4, v[2:3]
	v_lshlrev_b64 v[29:30], 4, v[5:6]
	ds_read_b128 v[13:16], v1
	ds_read_b128 v[17:20], v1 offset:208
	v_add_nc_u32_e32 v5, s9, v5
	v_add_co_u32 v11, vcc_lo, s8, v2
	v_add_co_ci_u32_e32 v12, vcc_lo, s10, v3, vcc_lo
	v_lshlrev_b64 v[31:32], 4, v[5:6]
	v_add_co_u32 v2, vcc_lo, v11, v7
	v_add_co_ci_u32_e32 v3, vcc_lo, v12, v8, vcc_lo
	v_add_co_u32 v7, vcc_lo, v11, v21
	v_add_co_ci_u32_e32 v8, vcc_lo, v12, v22, vcc_lo
	ds_read_b128 v[21:24], v1 offset:416
	ds_read_b128 v[25:28], v1 offset:624
	v_add_nc_u32_e32 v5, s9, v5
	s_mov_b32 s8, 0
	s_waitcnt lgkmcnt(3)
	global_store_dwordx4 v[2:3], v[13:16], off
	s_waitcnt lgkmcnt(2)
	global_store_dwordx4 v[7:8], v[17:20], off
	ds_read_b128 v[13:16], v1 offset:832
	v_add_co_u32 v2, vcc_lo, v11, v29
	v_lshlrev_b64 v[7:8], 4, v[5:6]
	v_add_nc_u32_e32 v5, s9, v5
	v_add_co_ci_u32_e32 v3, vcc_lo, v12, v30, vcc_lo
	v_add_co_u32 v17, vcc_lo, v11, v31
	v_add_co_ci_u32_e32 v18, vcc_lo, v12, v32, vcc_lo
	v_lshlrev_b64 v[29:30], 4, v[5:6]
	v_add_nc_u32_e32 v5, s9, v5
	v_add_co_u32 v7, vcc_lo, v11, v7
	v_add_co_ci_u32_e32 v8, vcc_lo, v12, v8, vcc_lo
	s_waitcnt lgkmcnt(2)
	global_store_dwordx4 v[2:3], v[21:24], off
	s_waitcnt lgkmcnt(1)
	global_store_dwordx4 v[17:18], v[25:28], off
	ds_read_b128 v[17:20], v1 offset:1040
	v_lshlrev_b64 v[2:3], 4, v[5:6]
	v_add_nc_u32_e32 v5, s9, v5
	s_waitcnt lgkmcnt(1)
	global_store_dwordx4 v[7:8], v[13:16], off
	v_add_co_u32 v7, vcc_lo, v11, v29
	v_add_co_ci_u32_e32 v8, vcc_lo, v12, v30, vcc_lo
	v_lshlrev_b64 v[29:30], 4, v[5:6]
	ds_read_b128 v[13:16], v1 offset:1248
	ds_read_b128 v[21:24], v1 offset:1456
	;; [unrolled: 1-line block ×3, first 2 shown]
	v_add_co_u32 v2, vcc_lo, v11, v2
	v_add_nc_u32_e32 v5, s9, v5
	v_add_co_ci_u32_e32 v3, vcc_lo, v12, v3, vcc_lo
	v_add_co_u32 v35, vcc_lo, v11, v29
	v_add_co_ci_u32_e32 v36, vcc_lo, v12, v30, vcc_lo
	ds_read_b128 v[29:32], v1 offset:1872
	v_lshlrev_b64 v[33:34], 4, v[5:6]
	v_add_nc_u32_e32 v5, s9, v5
	s_waitcnt lgkmcnt(4)
	global_store_dwordx4 v[7:8], v[17:20], off
	s_mov_b32 s10, exec_lo
	v_lshlrev_b64 v[7:8], 4, v[5:6]
	v_add_co_u32 v33, vcc_lo, v11, v33
	v_add_co_ci_u32_e32 v34, vcc_lo, v12, v34, vcc_lo
	v_add_nc_u32_e32 v5, s9, v5
	s_waitcnt lgkmcnt(3)
	global_store_dwordx4 v[2:3], v[13:16], off
	s_waitcnt lgkmcnt(2)
	global_store_dwordx4 v[35:36], v[21:24], off
	;; [unrolled: 2-line block ×3, first 2 shown]
	v_add_co_u32 v2, vcc_lo, v11, v7
	v_add_co_ci_u32_e32 v3, vcc_lo, v12, v8, vcc_lo
	v_lshlrev_b64 v[7:8], 4, v[5:6]
	v_add_nc_u32_e32 v5, s9, v5
	ds_read_b128 v[13:16], v1 offset:2080
	ds_read_b128 v[17:20], v1 offset:2288
	;; [unrolled: 1-line block ×3, first 2 shown]
	s_waitcnt lgkmcnt(3)
	global_store_dwordx4 v[2:3], v[29:32], off
	v_lshlrev_b64 v[2:3], 4, v[5:6]
	v_add_nc_u32_e32 v5, s9, v5
	v_add_co_u32 v7, vcc_lo, v11, v7
	v_add_co_ci_u32_e32 v8, vcc_lo, v12, v8, vcc_lo
	v_lshlrev_b64 v[25:26], 4, v[5:6]
	v_add_co_u32 v2, vcc_lo, v11, v2
	v_add_co_ci_u32_e32 v3, vcc_lo, v12, v3, vcc_lo
	s_waitcnt lgkmcnt(2)
	global_store_dwordx4 v[7:8], v[13:16], off
	s_waitcnt lgkmcnt(1)
	global_store_dwordx4 v[2:3], v[17:20], off
	v_add_co_u32 v25, vcc_lo, v11, v25
	v_add_co_ci_u32_e32 v26, vcc_lo, v12, v26, vcc_lo
                                        ; implicit-def: $vgpr3_vgpr4
                                        ; implicit-def: $vgpr7_vgpr8
	s_waitcnt lgkmcnt(0)
	global_store_dwordx4 v[25:26], v[21:24], off
	v_cmpx_gt_u32_e32 12, v0
	s_cbranch_execz .LBB0_9
; %bb.8:
	ds_read_b128 v[1:4], v1 offset:2704
	v_add_nc_u32_e32 v5, s9, v5
	s_mov_b32 s8, exec_lo
	v_lshlrev_b64 v[5:6], 4, v[5:6]
	v_add_co_u32 v7, vcc_lo, v11, v5
	v_add_co_ci_u32_e32 v8, vcc_lo, v12, v6, vcc_lo
	s_waitcnt lgkmcnt(0)
	global_store_dwordx2 v[7:8], v[1:2], off
.LBB0_9:
	s_or_b32 exec_lo, exec_lo, s10
	s_and_b32 vcc_lo, exec_lo, s3
	s_cbranch_vccnz .LBB0_11
	s_branch .LBB0_16
.LBB0_10:
                                        ; implicit-def: $vgpr3_vgpr4
                                        ; implicit-def: $vgpr7_vgpr8
	s_cbranch_execz .LBB0_16
.LBB0_11:
	v_add_nc_u32_e32 v1, s1, v10
	s_mov_b32 s1, exec_lo
                                        ; implicit-def: $vgpr3_vgpr4
                                        ; implicit-def: $vgpr7_vgpr8
	v_cmpx_gt_u32_e64 s0, v1
	s_cbranch_execz .LBB0_15
; %bb.12:
	v_mad_u64_u32 v[2:3], null, s12, v10, 0
	v_mul_lo_u32 v5, v9, s2
	v_mov_b32_e32 v6, 0
	v_mad_i32_i24 v1, 0xaa0, v10, 0
	s_mul_i32 s2, s2, 13
	s_lshl_b64 s[6:7], s[6:7], 4
	s_add_u32 s3, s4, s6
	v_mad_u64_u32 v[3:4], null, s13, v10, v[3:4]
	v_lshlrev_b64 v[7:8], 4, v[5:6]
	v_add_nc_u32_e32 v5, s2, v5
	v_lshl_add_u32 v4, v9, 4, v1
	s_addc_u32 s4, s5, s7
	ds_read_b128 v[11:14], v4
	ds_read_b128 v[15:18], v4 offset:208
	v_lshlrev_b64 v[2:3], 4, v[2:3]
	v_lshlrev_b64 v[27:28], 4, v[5:6]
	v_add_nc_u32_e32 v5, s2, v5
	ds_read_b128 v[19:22], v4 offset:416
	ds_read_b128 v[23:26], v4 offset:624
	v_add_co_u32 v9, vcc_lo, s3, v2
	v_add_co_ci_u32_e32 v10, vcc_lo, s4, v3, vcc_lo
	v_lshlrev_b64 v[29:30], 4, v[5:6]
	v_add_nc_u32_e32 v5, s2, v5
	v_add_co_u32 v7, vcc_lo, v9, v7
	v_add_co_ci_u32_e32 v8, vcc_lo, v10, v8, vcc_lo
	v_lshlrev_b64 v[2:3], 4, v[5:6]
	v_add_co_u32 v27, vcc_lo, v9, v27
	v_add_co_ci_u32_e32 v28, vcc_lo, v10, v28, vcc_lo
	v_add_co_u32 v29, vcc_lo, v9, v29
	v_add_co_ci_u32_e32 v30, vcc_lo, v10, v30, vcc_lo
	v_add_co_u32 v2, vcc_lo, v9, v2
	v_add_nc_u32_e32 v5, s2, v5
	v_add_co_ci_u32_e32 v3, vcc_lo, v10, v3, vcc_lo
	s_waitcnt lgkmcnt(3)
	global_store_dwordx4 v[7:8], v[11:14], off
	s_waitcnt lgkmcnt(2)
	global_store_dwordx4 v[27:28], v[15:18], off
	;; [unrolled: 2-line block ×4, first 2 shown]
	v_lshlrev_b64 v[7:8], 4, v[5:6]
	v_add_nc_u32_e32 v5, s2, v5
	ds_read_b128 v[11:14], v4 offset:832
	ds_read_b128 v[15:18], v4 offset:1040
	;; [unrolled: 1-line block ×3, first 2 shown]
	s_mul_hi_u32 s3, s0, 0xaaaaaaab
	v_lshlrev_b64 v[2:3], 4, v[5:6]
	v_add_nc_u32_e32 v5, s2, v5
	v_add_co_u32 v7, vcc_lo, v9, v7
	v_add_co_ci_u32_e32 v8, vcc_lo, v10, v8, vcc_lo
	v_lshlrev_b64 v[23:24], 4, v[5:6]
	v_add_co_u32 v2, vcc_lo, v9, v2
	v_add_co_ci_u32_e32 v3, vcc_lo, v10, v3, vcc_lo
	v_add_nc_u32_e32 v5, s2, v5
	v_add_co_u32 v23, vcc_lo, v9, v23
	v_add_co_ci_u32_e32 v24, vcc_lo, v10, v24, vcc_lo
	s_waitcnt lgkmcnt(2)
	global_store_dwordx4 v[7:8], v[11:14], off
	s_waitcnt lgkmcnt(1)
	global_store_dwordx4 v[2:3], v[15:18], off
	ds_read_b128 v[11:14], v4 offset:1456
	v_lshlrev_b64 v[25:26], 4, v[5:6]
	v_add_nc_u32_e32 v5, s2, v5
	s_waitcnt lgkmcnt(1)
	global_store_dwordx4 v[23:24], v[19:22], off
	ds_read_b128 v[15:18], v4 offset:1664
	ds_read_b128 v[19:22], v4 offset:1872
	s_lshr_b32 s3, s3, 3
	v_lshlrev_b64 v[2:3], 4, v[5:6]
	v_add_nc_u32_e32 v5, s2, v5
	v_add_co_u32 v7, vcc_lo, v9, v25
	v_add_co_ci_u32_e32 v8, vcc_lo, v10, v26, vcc_lo
	v_lshlrev_b64 v[23:24], 4, v[5:6]
	v_add_co_u32 v2, vcc_lo, v9, v2
	v_add_nc_u32_e32 v5, s2, v5
	v_add_co_ci_u32_e32 v3, vcc_lo, v10, v3, vcc_lo
	v_add_co_u32 v23, vcc_lo, v9, v23
	v_add_co_ci_u32_e32 v24, vcc_lo, v10, v24, vcc_lo
	s_waitcnt lgkmcnt(2)
	global_store_dwordx4 v[7:8], v[11:14], off
	v_lshlrev_b64 v[7:8], 4, v[5:6]
	v_add_nc_u32_e32 v5, s2, v5
	s_waitcnt lgkmcnt(1)
	global_store_dwordx4 v[2:3], v[15:18], off
	s_waitcnt lgkmcnt(0)
	global_store_dwordx4 v[23:24], v[19:22], off
	ds_read_b128 v[11:14], v4 offset:2080
	ds_read_b128 v[15:18], v4 offset:2288
	;; [unrolled: 1-line block ×3, first 2 shown]
	s_mul_i32 s3, s3, 12
	v_lshlrev_b64 v[2:3], 4, v[5:6]
	v_add_nc_u32_e32 v5, s2, v5
	v_add_co_u32 v7, vcc_lo, v9, v7
	v_add_co_ci_u32_e32 v8, vcc_lo, v10, v8, vcc_lo
	v_lshlrev_b64 v[23:24], 4, v[5:6]
	v_add_co_u32 v2, vcc_lo, v9, v2
	v_add_co_ci_u32_e32 v3, vcc_lo, v10, v3, vcc_lo
	s_sub_i32 s0, s0, s3
	v_add_co_u32 v23, vcc_lo, v9, v23
	v_add_co_ci_u32_e32 v24, vcc_lo, v10, v24, vcc_lo
	v_cmp_gt_u32_e32 vcc_lo, s0, v0
	s_mov_b32 s3, s8
	s_waitcnt lgkmcnt(2)
	global_store_dwordx4 v[7:8], v[11:14], off
	s_waitcnt lgkmcnt(1)
	global_store_dwordx4 v[2:3], v[15:18], off
	;; [unrolled: 2-line block ×3, first 2 shown]
                                        ; implicit-def: $vgpr3_vgpr4
                                        ; implicit-def: $vgpr7_vgpr8
	s_and_saveexec_b32 s0, vcc_lo
	s_cbranch_execz .LBB0_14
; %bb.13:
	ds_read_b128 v[1:4], v1 offset:2704
	v_add_nc_u32_e32 v5, s2, v5
	s_or_b32 s3, s8, exec_lo
	v_lshlrev_b64 v[5:6], 4, v[5:6]
	v_add_co_u32 v7, vcc_lo, v9, v5
	v_add_co_ci_u32_e32 v8, vcc_lo, v10, v6, vcc_lo
	s_waitcnt lgkmcnt(0)
	global_store_dwordx2 v[7:8], v[1:2], off
.LBB0_14:
	s_or_b32 exec_lo, exec_lo, s0
	s_andn2_b32 s0, s8, exec_lo
	s_and_b32 s2, s3, exec_lo
	s_or_b32 s8, s0, s2
.LBB0_15:
	s_or_b32 exec_lo, exec_lo, s1
.LBB0_16:
	s_and_saveexec_b32 s0, s8
	s_cbranch_execnz .LBB0_18
; %bb.17:
	s_endpgm
.LBB0_18:
	global_store_dwordx2 v[7:8], v[3:4], off offset:8
	s_endpgm
	.section	.rodata,"a",@progbits
	.p2align	6, 0x0
	.amdhsa_kernel fft_rtc_back_len169_factors_13_13_wgs_156_tpt_13_dp_op_CI_CI_sbrc_erc_z_xy_unaligned
		.amdhsa_group_segment_fixed_size 0
		.amdhsa_private_segment_fixed_size 0
		.amdhsa_kernarg_size 104
		.amdhsa_user_sgpr_count 6
		.amdhsa_user_sgpr_private_segment_buffer 1
		.amdhsa_user_sgpr_dispatch_ptr 0
		.amdhsa_user_sgpr_queue_ptr 0
		.amdhsa_user_sgpr_kernarg_segment_ptr 1
		.amdhsa_user_sgpr_dispatch_id 0
		.amdhsa_user_sgpr_flat_scratch_init 0
		.amdhsa_user_sgpr_private_segment_size 0
		.amdhsa_wavefront_size32 1
		.amdhsa_uses_dynamic_stack 0
		.amdhsa_system_sgpr_private_segment_wavefront_offset 0
		.amdhsa_system_sgpr_workgroup_id_x 1
		.amdhsa_system_sgpr_workgroup_id_y 0
		.amdhsa_system_sgpr_workgroup_id_z 0
		.amdhsa_system_sgpr_workgroup_info 0
		.amdhsa_system_vgpr_workitem_id 0
		.amdhsa_next_free_vgpr 188
		.amdhsa_next_free_sgpr 53
		.amdhsa_reserve_vcc 1
		.amdhsa_reserve_flat_scratch 0
		.amdhsa_float_round_mode_32 0
		.amdhsa_float_round_mode_16_64 0
		.amdhsa_float_denorm_mode_32 3
		.amdhsa_float_denorm_mode_16_64 3
		.amdhsa_dx10_clamp 1
		.amdhsa_ieee_mode 1
		.amdhsa_fp16_overflow 0
		.amdhsa_workgroup_processor_mode 1
		.amdhsa_memory_ordered 1
		.amdhsa_forward_progress 0
		.amdhsa_shared_vgpr_count 0
		.amdhsa_exception_fp_ieee_invalid_op 0
		.amdhsa_exception_fp_denorm_src 0
		.amdhsa_exception_fp_ieee_div_zero 0
		.amdhsa_exception_fp_ieee_overflow 0
		.amdhsa_exception_fp_ieee_underflow 0
		.amdhsa_exception_fp_ieee_inexact 0
		.amdhsa_exception_int_div_zero 0
	.end_amdhsa_kernel
	.text
.Lfunc_end0:
	.size	fft_rtc_back_len169_factors_13_13_wgs_156_tpt_13_dp_op_CI_CI_sbrc_erc_z_xy_unaligned, .Lfunc_end0-fft_rtc_back_len169_factors_13_13_wgs_156_tpt_13_dp_op_CI_CI_sbrc_erc_z_xy_unaligned
                                        ; -- End function
	.section	.AMDGPU.csdata,"",@progbits
; Kernel info:
; codeLenInByte = 12336
; NumSgprs: 55
; NumVgprs: 188
; ScratchSize: 0
; MemoryBound: 0
; FloatMode: 240
; IeeeMode: 1
; LDSByteSize: 0 bytes/workgroup (compile time only)
; SGPRBlocks: 6
; VGPRBlocks: 23
; NumSGPRsForWavesPerEU: 55
; NumVGPRsForWavesPerEU: 188
; Occupancy: 5
; WaveLimiterHint : 1
; COMPUTE_PGM_RSRC2:SCRATCH_EN: 0
; COMPUTE_PGM_RSRC2:USER_SGPR: 6
; COMPUTE_PGM_RSRC2:TRAP_HANDLER: 0
; COMPUTE_PGM_RSRC2:TGID_X_EN: 1
; COMPUTE_PGM_RSRC2:TGID_Y_EN: 0
; COMPUTE_PGM_RSRC2:TGID_Z_EN: 0
; COMPUTE_PGM_RSRC2:TIDIG_COMP_CNT: 0
	.text
	.p2alignl 6, 3214868480
	.fill 48, 4, 3214868480
	.type	__hip_cuid_64a1203667485ae6,@object ; @__hip_cuid_64a1203667485ae6
	.section	.bss,"aw",@nobits
	.globl	__hip_cuid_64a1203667485ae6
__hip_cuid_64a1203667485ae6:
	.byte	0                               ; 0x0
	.size	__hip_cuid_64a1203667485ae6, 1

	.ident	"AMD clang version 19.0.0git (https://github.com/RadeonOpenCompute/llvm-project roc-6.4.0 25133 c7fe45cf4b819c5991fe208aaa96edf142730f1d)"
	.section	".note.GNU-stack","",@progbits
	.addrsig
	.addrsig_sym __hip_cuid_64a1203667485ae6
	.amdgpu_metadata
---
amdhsa.kernels:
  - .args:
      - .actual_access:  read_only
        .address_space:  global
        .offset:         0
        .size:           8
        .value_kind:     global_buffer
      - .offset:         8
        .size:           8
        .value_kind:     by_value
      - .actual_access:  read_only
        .address_space:  global
        .offset:         16
        .size:           8
        .value_kind:     global_buffer
      - .actual_access:  read_only
        .address_space:  global
        .offset:         24
        .size:           8
        .value_kind:     global_buffer
      - .actual_access:  read_only
        .address_space:  global
        .offset:         32
        .size:           8
        .value_kind:     global_buffer
      - .offset:         40
        .size:           8
        .value_kind:     by_value
      - .actual_access:  read_only
        .address_space:  global
        .offset:         48
        .size:           8
        .value_kind:     global_buffer
      - .actual_access:  read_only
        .address_space:  global
        .offset:         56
        .size:           8
        .value_kind:     global_buffer
      - .offset:         64
        .size:           4
        .value_kind:     by_value
      - .actual_access:  read_only
        .address_space:  global
        .offset:         72
        .size:           8
        .value_kind:     global_buffer
      - .actual_access:  read_only
        .address_space:  global
        .offset:         80
        .size:           8
        .value_kind:     global_buffer
      - .actual_access:  read_only
        .address_space:  global
        .offset:         88
        .size:           8
        .value_kind:     global_buffer
      - .actual_access:  write_only
        .address_space:  global
        .offset:         96
        .size:           8
        .value_kind:     global_buffer
    .group_segment_fixed_size: 0
    .kernarg_segment_align: 8
    .kernarg_segment_size: 104
    .language:       OpenCL C
    .language_version:
      - 2
      - 0
    .max_flat_workgroup_size: 156
    .name:           fft_rtc_back_len169_factors_13_13_wgs_156_tpt_13_dp_op_CI_CI_sbrc_erc_z_xy_unaligned
    .private_segment_fixed_size: 0
    .sgpr_count:     55
    .sgpr_spill_count: 0
    .symbol:         fft_rtc_back_len169_factors_13_13_wgs_156_tpt_13_dp_op_CI_CI_sbrc_erc_z_xy_unaligned.kd
    .uniform_work_group_size: 1
    .uses_dynamic_stack: false
    .vgpr_count:     188
    .vgpr_spill_count: 0
    .wavefront_size: 32
    .workgroup_processor_mode: 1
amdhsa.target:   amdgcn-amd-amdhsa--gfx1030
amdhsa.version:
  - 1
  - 2
...

	.end_amdgpu_metadata
